;; amdgpu-corpus repo=ROCm/aiter kind=harvested arch=n/a opt=n/a

/root/src/amdgpu-assembly/repos/ROCm__aiter/hsa/gfx950/fmha_v3_bwd/bwd_hd128_bf16_swa_a32_rtz_psskddv.co:	file format elf64-amdgpu

Disassembly of section .text:

0000000000003e00 <_ZN5aiter49fmha_bwd_hd128_bf16_swa_a32_rtz_psskddv_recompileE>:
	s_and_b32 s1, s1, 0xffff                                   // 000000003E00: 8601FF01 0000FFFF
	s_load_dwordx2 s[32:33], s[0:1], 0x0                       // 000000003E08: C0060800 00000000
	s_load_dwordx2 s[36:37], s[0:1], 0x10                      // 000000003E10: C0060900 00000010
	s_load_dwordx2 s[40:41], s[0:1], 0x20                      // 000000003E18: C0060A00 00000020
	s_load_dwordx2 s[8:9], s[0:1], 0x30                        // 000000003E20: C0060200 00000030
	s_load_dwordx2 s[12:13], s[0:1], 0x40                      // 000000003E28: C0060300 00000040
	s_load_dwordx2 s[16:17], s[0:1], 0x50                      // 000000003E30: C0060400 00000050
	s_load_dwordx2 s[20:21], s[0:1], 0x60                      // 000000003E38: C0060500 00000060
	s_load_dwordx2 s[24:25], s[0:1], 0x70                      // 000000003E40: C0060600 00000070
	s_load_dwordx2 s[28:29], s[0:1], 0x80                      // 000000003E48: C0060700 00000080
	s_load_dword s47, s[0:1], 0x90                             // 000000003E50: C0020BC0 00000090
	s_load_dword s48, s[0:1], 0xa0                             // 000000003E58: C0020C00 000000A0
	s_load_dword s49, s[0:1], 0xb0                             // 000000003E60: C0020C40 000000B0
	s_load_dword s74, s[0:1], 0xd0                             // 000000003E68: C0021280 000000D0
	s_load_dword s75, s[0:1], 0xe0                             // 000000003E70: C00212C0 000000E0
	s_load_dword s5, s[0:1], 0xf0                              // 000000003E78: C0020140 000000F0
	s_load_dword s44, s[0:1], 0x100                            // 000000003E80: C0020B00 00000100
	s_load_dword s76, s[0:1], 0x110                            // 000000003E88: C0021300 00000110
	s_load_dword s77, s[0:1], 0x120                            // 000000003E90: C0021340 00000120
	s_load_dword s6, s[0:1], 0x130                             // 000000003E98: C0020180 00000130
	s_load_dword s52, s[0:1], 0x140                            // 000000003EA0: C0020D00 00000140
	s_load_dword s50, s[0:1], 0x150                            // 000000003EA8: C0020C80 00000150
	s_load_dword s96, s[0:1], 0x160                            // 000000003EB0: C0021800 00000160
	s_load_dword s98, s[0:1], 0x180                            // 000000003EB8: C0021880 00000180
	s_load_dword s86, s[0:1], 0x190                            // 000000003EC0: C0021580 00000190
	s_load_dword s87, s[0:1], 0x1a0                            // 000000003EC8: C00215C0 000001A0
	s_load_dword s7, s[0:1], 0x1b0                             // 000000003ED0: C00201C0 000001B0
	s_load_dword s88, s[0:1], 0x1c0                            // 000000003ED8: C0021600 000001C0
	s_load_dword s89, s[0:1], 0x1d0                            // 000000003EE0: C0021640 000001D0
	s_load_dword s51, s[0:1], 0x1e0                            // 000000003EE8: C0020CC0 000001E0
	s_load_dword s90, s[0:1], 0x1f0                            // 000000003EF0: C0021680 000001F0
	s_load_dword s91, s[0:1], 0x200                            // 000000003EF8: C00216C0 00000200
	s_load_dword s92, s[0:1], 0x210                            // 000000003F00: C0021700 00000210
	s_load_dword s93, s[0:1], 0x220                            // 000000003F08: C0021740 00000220
	s_load_dword s53, s[0:1], 0x230                            // 000000003F10: C0020D40 00000230
	s_load_dword s99, s[0:1], 0x2a0                            // 000000003F18: C00218C0 000002A0
	s_load_dword s100, s[0:1], 0x2b0                           // 000000003F20: C0021900 000002B0
	v_lshrrev_b32_e32 v1, 10, v0                               // 000000003F28: 2002008A
	v_lshrrev_b32_e32 v2, 10, v1                               // 000000003F2C: 2004028A
	v_and_b32_e32 v2, 0x3ff, v2                                // 000000003F30: 260404FF 000003FF
	v_and_b32_e32 v1, 0x3ff, v1                                // 000000003F38: 260202FF 000003FF
	v_and_b32_e32 v0, 0x3ff, v0                                // 000000003F40: 260000FF 000003FF
	v_lshrrev_b32_e32 v3, 6, v0                                // 000000003F48: 20060086
	v_and_b32_e32 v0, 63, v0                                   // 000000003F4C: 260000BF
	s_mov_b32 s2, s2                                           // 000000003F50: BE820002
	s_mov_b32 s3, s3                                           // 000000003F54: BE830003
	s_mov_b32 s4, s4                                           // 000000003F58: BE840004
	v_readfirstlane_b32 s46, v3                                // 000000003F5C: 7E5C0503
	s_waitcnt lgkmcnt(0)                                       // 000000003F60: BF8CC07F
	s_mov_b32 s11, 0x20000                                     // 000000003F64: BE8B00FF 00020000
	s_mov_b32 s15, 0x20000                                     // 000000003F6C: BE8F00FF 00020000
	s_mov_b32 s19, 0x20000                                     // 000000003F74: BE9300FF 00020000
	s_mov_b32 s23, 0x20000                                     // 000000003F7C: BE9700FF 00020000
	s_mov_b32 s27, 0x20000                                     // 000000003F84: BE9B00FF 00020000
	s_mov_b32 s31, 0x20000                                     // 000000003F8C: BE9F00FF 00020000
	s_mov_b32 s35, 0x20000                                     // 000000003F94: BEA300FF 00020000
	s_mov_b32 s39, 0x20000                                     // 000000003F9C: BEA700FF 00020000
	s_mov_b32 s43, 0x20000                                     // 000000003FA4: BEAB00FF 00020000
	s_and_b32 s9, s9, 0xffff                                   // 000000003FAC: 8609FF09 0000FFFF
	s_and_b32 s13, s13, 0xffff                                 // 000000003FB4: 860DFF0D 0000FFFF
	s_and_b32 s17, s17, 0xffff                                 // 000000003FBC: 8611FF11 0000FFFF
	s_and_b32 s21, s21, 0xffff                                 // 000000003FC4: 8615FF15 0000FFFF
	s_and_b32 s25, s25, 0xffff                                 // 000000003FCC: 8619FF19 0000FFFF
	s_and_b32 s29, s29, 0xffff                                 // 000000003FD4: 861DFF1D 0000FFFF
	s_and_b32 s33, s33, 0xffff                                 // 000000003FDC: 8621FF21 0000FFFF
	s_and_b32 s37, s37, 0xffff                                 // 000000003FE4: 8625FF25 0000FFFF
	s_and_b32 s41, s41, 0xffff                                 // 000000003FEC: 8629FF29 0000FFFF
	s_or_b32 s9, s9, 0x40000                                   // 000000003FF4: 8709FF09 00040000
	s_or_b32 s13, s13, 0x40000                                 // 000000003FFC: 870DFF0D 00040000
	s_or_b32 s17, s17, 0x40000                                 // 000000004004: 8711FF11 00040000
	s_or_b32 s21, s21, 0x40000                                 // 00000000400C: 8715FF15 00040000
	s_or_b32 s25, s25, 0x40000                                 // 000000004014: 8719FF19 00040000
	s_or_b32 s29, s29, 0x40000                                 // 00000000401C: 871DFF1D 00040000
	s_or_b32 s33, s33, 0x40000                                 // 000000004024: 8721FF21 00040000
	s_or_b32 s37, s37, 0x40000                                 // 00000000402C: 8725FF25 00040000
	s_or_b32 s41, s41, 0x40000                                 // 000000004034: 8729FF29 00040000
	v_accvgpr_write_b32 a255, 0                                // 00000000403C: D3D940FF 18000080
	v_mov_b32_e32 v255, 0                                      // 000000004044: 7FFE0280
	s_mov_b32 s78, s8                                          // 000000004048: BECE0008
	s_mov_b32 s80, s12                                         // 00000000404C: BED0000C
	s_mov_b32 s82, s16                                         // 000000004050: BED20010
	s_mov_b32 s84, s20                                         // 000000004054: BED40014
	s_mov_b32 s79, s9                                          // 000000004058: BECF0009
	s_mov_b32 s81, s13                                         // 00000000405C: BED1000D
	s_mov_b32 s83, s17                                         // 000000004060: BED30011
	s_mov_b32 s85, s21                                         // 000000004064: BED50015
	s_mov_b32 s71, s3                                          // 000000004068: BEC70003
	v_cvt_f32_u32_e32 v28, s44                                 // 00000000406C: 7E380C2C
	s_sub_i32 s60, 0, s44                                      // 000000004070: 81BC2C80
	v_rcp_iflag_f32_e32 v28, v28                               // 000000004074: 7E38471C
	s_nop 0                                                    // 000000004078: BF800000
	v_mul_f32_e32 v28, 0x4f7ffffe, v28                         // 00000000407C: 0A3838FF 4F7FFFFE
	v_cvt_u32_f32_e32 v28, v28                                 // 000000004084: 7E380F1C
	v_mul_lo_u32 v29, s60, v28                                 // 000000004088: D285001D 0002383C
	v_mul_hi_u32 v29, v28, v29                                 // 000000004090: D286001D 00023B1C
	v_add_u32_e32 v28, v28, v29                                // 000000004098: 68383B1C
	v_mul_hi_u32 v28, s71, v28                                 // 00000000409C: D286001C 00023847
	v_mul_lo_u32 v29, v28, s44                                 // 0000000040A4: D285001D 0000591C
	v_sub_u32_e32 v31, s71, v29                                // 0000000040AC: 6A3E3A47
	v_add_u32_e32 v30, 1, v28                                  // 0000000040B0: 683C3881
	v_cmp_le_u32_e32 vcc, s44, v31                             // 0000000040B4: 7D963E2C
	v_subrev_u32_e32 v29, s44, v31                             // 0000000040B8: 6C3A3E2C
	s_nop 0                                                    // 0000000040BC: BF800000
	v_cndmask_b32_e32 v28, v28, v30, vcc                       // 0000000040C0: 00383D1C
	v_cndmask_b32_e32 v31, v31, v29, vcc                       // 0000000040C4: 003E3B1F
	v_add_u32_e32 v29, 1, v28                                  // 0000000040C8: 683A3881
	v_cmp_le_u32_e32 vcc, s44, v31                             // 0000000040CC: 7D963E2C
	s_nop 1                                                    // 0000000040D0: BF800001
	v_cndmask_b32_e32 v31, v28, v29, vcc                       // 0000000040D4: 003E3B1C
	s_nop 3                                                    // 0000000040D8: BF800003
	v_readfirstlane_b32 s45, v31                               // 0000000040DC: 7E5A051F
	s_nop 3                                                    // 0000000040E0: BF800003
	v_mov_b32_e32 v28, s47                                     // 0000000040E4: 7E38022F
	v_mul_f32_e32 v28, s48, v28                                // 0000000040E8: 0A383830
	s_mov_b32 s66, 0                                           // 0000000040EC: BEC20080
	s_mov_b32 s58, s49                                         // 0000000040F0: BEBA0031
	s_mov_b32 s59, 0                                           // 0000000040F4: BEBB0080
	v_mov_b32_e32 v151, 0xff800000                             // 0000000040F8: 7F2E02FF FF800000
	s_mov_b32 s63, 0x5040100                                   // 000000004100: BEBF00FF 05040100
	s_mov_b32 s64, 0x7060302                                   // 000000004108: BEC000FF 07060302
	v_readfirstlane_b32 s57, v28                               // 000000004110: 7E72051C
	v_mov_b32_e32 v30, 0x3020706                               // 000000004114: 7E3C02FF 03020706
	v_mov_b32_e32 v28, s63                                     // 00000000411C: 7E38023F
	v_and_b32_e32 v29, 1, v0                                   // 000000004120: 263A0081
	v_cmp_eq_u32_e32 vcc, 1, v29                               // 000000004124: 7D943A81
	s_mul_i32 s60, s96, 64                                     // 000000004128: 923CC060
	s_mov_b32 s67, s60                                         // 00000000412C: BEC3003C
	v_cndmask_b32_e32 v15, v28, v30, vcc                       // 000000004130: 001E3D1C
	s_mul_i32 s68, 4, s5                                       // 000000004134: 92440584
	s_mul_i32 s97, 4, s51                                      // 000000004138: 92613384
	s_mov_b32 s69, 16                                          // 00000000413C: BEC50090
	s_mul_i32 s60, s6, 0xc0                                    // 000000004140: 923CFF06 000000C0
	s_mul_i32 s60, s2, s60                                     // 000000004148: 923C3C02
	s_mul_i32 s61, s45, s76                                    // 00000000414C: 923D4C2D
	s_mul_i32 s62, s4, s77                                     // 000000004150: 923E4D04
	s_add_u32 s54, s60, s61                                    // 000000004154: 80363D3C
	s_add_u32 s54, s54, s62                                    // 000000004158: 80363E36
	s_mul_i32 s60, s2, 0xc0                                    // 00000000415C: 923CFF02 000000C0
	s_sub_i32 s60, s50, s60                                    // 000000004164: 81BC3C32
	s_mul_i32 s60, s6, s60                                     // 000000004168: 923C3C06
	s_lshr_b32 s60, s60, 2                                     // 00000000416C: 8F3C823C
	s_mov_b32 s14, s60                                         // 000000004170: BE8E003C
	s_add_u32 s12, s54, s80                                    // 000000004174: 800C5036
	s_addc_u32 s13, 0, s81                                     // 000000004178: 820D5180
	s_mul_i32 s60, s7, 0xc0                                    // 00000000417C: 923CFF07 000000C0
	s_mul_i32 s60, s2, s60                                     // 000000004184: 923C3C02
	s_mul_i32 s61, s45, s86                                    // 000000004188: 923D562D
	s_mul_i32 s62, s4, s87                                     // 00000000418C: 923E5704
	s_add_u32 s54, s60, s61                                    // 000000004190: 80363D3C
	s_add_u32 s54, s54, s62                                    // 000000004194: 80363E36
	s_mul_i32 s60, s2, 0xc0                                    // 000000004198: 923CFF02 000000C0
	s_sub_i32 s60, s50, s60                                    // 0000000041A0: 81BC3C32
	s_mul_i32 s60, s7, s60                                     // 0000000041A4: 923C3C07
	s_lshr_b32 s60, s60, 2                                     // 0000000041A8: 8F3C823C
	s_mov_b32 s18, s60                                         // 0000000041AC: BE92003C
	s_add_u32 s16, s54, s82                                    // 0000000041B0: 80105236
	s_addc_u32 s17, 0, s83                                     // 0000000041B4: 82115380
	s_mul_i32 s80, s2, 0xc0                                    // 0000000041B8: 9250FF02 000000C0
	s_sub_i32 s61, s80, s99                                    // 0000000041C0: 81BD6350
	s_cmp_ge_i32 s61, 0                                        // 0000000041C4: BF03803D
	s_cselect_b32 s61, s61, 0                                  // 0000000041C8: 853D803D
	s_cmp_lt_i32 s61, s49                                      // 0000000041CC: BF04313D
	s_cselect_b32 s61, s61, s49                                // 0000000041D0: 853D313D
	s_and_b32 s59, s61, -16                                    // 0000000041D4: 863BD03D
	s_add_i32 s60, s80, 0xc0                                   // 0000000041D8: 813CFF50 000000C0
	s_add_i32 s61, s60, s100                                   // 0000000041E0: 813D643C
	s_cmp_ge_i32 s61, 0                                        // 0000000041E4: BF03803D
	s_cselect_b32 s61, s61, 0                                  // 0000000041E8: 853D803D
	s_cmp_lt_i32 s61, s49                                      // 0000000041EC: BF04313D
	s_cselect_b32 s61, s61, s49                                // 0000000041F0: 853D313D
	s_mov_b32 s58, s61                                         // 0000000041F4: BEBA003D
	s_add_u32 s101, 16, s59                                    // 0000000041F8: 80653B90
	s_mul_i32 s61, s3, s74                                     // 0000000041FC: 923D4A03
	s_mul_i32 s62, s4, s75                                     // 000000004200: 923E4B04
	s_add_u32 s55, s61, s62                                    // 000000004204: 80373E3D
	s_mul_i32 s60, s5, s59                                     // 000000004208: 923C3B05
	s_add_u32 s55, s60, s55                                    // 00000000420C: 8037373C
	s_sub_i32 s60, s58, s59                                    // 000000004210: 81BC3B3A
	s_mul_i32 s61, s5, s60                                     // 000000004214: 923D3C05
	s_lshr_b32 s61, s61, 2                                     // 000000004218: 8F3D823D
	s_mov_b32 s10, s61                                         // 00000000421C: BE8A003D
	s_add_u32 s8, s55, s78                                     // 000000004220: 80084E37
	s_addc_u32 s9, 0, s79                                      // 000000004224: 82094F80
	s_mul_i32 s61, s3, s88                                     // 000000004228: 923D5803
	s_mul_i32 s62, s4, s89                                     // 00000000422C: 923E5904
	s_add_u32 s56, s61, s62                                    // 000000004230: 80383E3D
	s_mul_i32 s61, s51, s59                                    // 000000004234: 923D3B33
	s_add_u32 s56, s61, s56                                    // 000000004238: 8038383D
	s_mul_i32 s61, s51, s60                                    // 00000000423C: 923D3C33
	s_lshr_b32 s61, s61, 2                                     // 000000004240: 8F3D823D
	s_mov_b32 s22, s61                                         // 000000004244: BE96003D
	s_add_u32 s20, s56, s84                                    // 000000004248: 80145438
	s_addc_u32 s21, 0, s85                                     // 00000000424C: 82155580
	s_mul_i32 s62, s4, s98                                     // 000000004250: 923E6204
	s_mul_i32 s62, s62, s49                                    // 000000004254: 923E313E
	s_lshl_b32 s62, s62, 2                                     // 000000004258: 8E3E823E
	s_mul_i32 s61, s3, s49                                     // 00000000425C: 923D3103
	s_mul_i32 s61, 4, s61                                      // 000000004260: 923D3D84
	s_add_u32 s65, s61, s62                                    // 000000004264: 80413E3D
	s_mul_i32 s60, 4, s58                                      // 000000004268: 923C3A84
	s_add_u32 s60, s60, s61                                    // 00000000426C: 803C3D3C
	s_add_u32 s60, s60, s62                                    // 000000004270: 803C3E3C
	s_lshr_b32 s60, s60, 2                                     // 000000004274: 8F3C823C
	s_add_u32 s24, s65, s24                                    // 000000004278: 80181841
	s_addc_u32 s25, 0, s25                                     // 00000000427C: 82191980
	s_add_u32 s28, s65, s28                                    // 000000004280: 801C1C41
	s_addc_u32 s29, 0, s29                                     // 000000004284: 821D1D80
	s_mov_b32 s26, s60                                         // 000000004288: BE9A003C
	s_mov_b32 s30, s60                                         // 00000000428C: BE9E003C
	s_cmp_lt_u32 s46, 2                                        // 000000004290: BF0A822E
	s_cselect_b32 s24, s24, s28                                // 000000004294: 85181C18
	s_cselect_b32 s25, s25, s29                                // 000000004298: 85191D19
	s_cselect_b32 s26, s26, s30                                // 00000000429C: 851A1E1A
	s_cselect_b32 s27, s27, s31                                // 0000000042A0: 851B1F1B
	s_mov_b32 s71, s6                                          // 0000000042A4: BEC70006
	v_lshrrev_b32_e32 v28, 4, v0                               // 0000000042A8: 20380084
	v_and_b32_e32 v29, 1, v28                                  // 0000000042AC: 263A3881
	v_lshlrev_b32_e32 v29, 1, v29                              // 0000000042B0: 243A3A81
	v_mul_i32_i24_e32 v29, s71, v29                            // 0000000042B4: 0C3A3A47
	v_and_b32_e32 v30, 2, v28                                  // 0000000042B8: 263C3882
	v_lshlrev_b32_e32 v30, 5, v30                              // 0000000042BC: 243C3C85
	v_add_u32_e32 v29, v30, v29                                // 0000000042C0: 683A3B1E
	v_and_b32_e32 v28, 15, v0                                  // 0000000042C4: 2638008F
	v_lshlrev_b32_e32 v28, 2, v28                              // 0000000042C8: 24383882
	v_add_u32_e32 v1, v28, v29                                 // 0000000042CC: 68023B1C
	s_and_b32 s60, 1, s46                                      // 0000000042D0: 863C2E81
	s_mul_i32 s60, s60, s71                                    // 0000000042D4: 923C473C
	s_mul_i32 s60, s60, 8                                      // 0000000042D8: 923C883C
	s_lshr_b32 s61, s46, 1                                     // 0000000042DC: 8F3D812E
	s_mul_i32 s61, s61, 0x80                                   // 0000000042E0: 923DFF3D 00000080
	s_add_u32 s60, s60, s61                                    // 0000000042E8: 803C3D3C
	v_add_u32_e32 v1, s60, v1                                  // 0000000042EC: 6802023C
	v_add_u32_e32 v2, s71, v1                                  // 0000000042F0: 68040247
	s_mul_i32 s60, 4, s71                                      // 0000000042F4: 923C4784
	v_add_u32_e32 v3, s60, v1                                  // 0000000042F8: 6806023C
	v_add_u32_e32 v4, s60, v2                                  // 0000000042FC: 6808043C
	s_mov_b32 s71, s7                                          // 000000004300: BEC70007
	v_lshrrev_b32_e32 v28, 4, v0                               // 000000004304: 20380084
	v_and_b32_e32 v29, 1, v28                                  // 000000004308: 263A3881
	v_lshlrev_b32_e32 v29, 1, v29                              // 00000000430C: 243A3A81
	v_mul_i32_i24_e32 v29, s71, v29                            // 000000004310: 0C3A3A47
	v_and_b32_e32 v30, 2, v28                                  // 000000004314: 263C3882
	v_lshlrev_b32_e32 v30, 5, v30                              // 000000004318: 243C3C85
	v_add_u32_e32 v29, v30, v29                                // 00000000431C: 683A3B1E
	v_and_b32_e32 v28, 15, v0                                  // 000000004320: 2638008F
	v_lshlrev_b32_e32 v28, 2, v28                              // 000000004324: 24383882
	v_add_u32_e32 v252, v28, v29                               // 000000004328: 69F83B1C
	s_and_b32 s60, 1, s46                                      // 00000000432C: 863C2E81
	s_mul_i32 s60, s60, s71                                    // 000000004330: 923C473C
	s_mul_i32 s60, s60, 8                                      // 000000004334: 923C883C
	s_lshr_b32 s61, s46, 1                                     // 000000004338: 8F3D812E
	s_mul_i32 s61, s61, 0x80                                   // 00000000433C: 923DFF3D 00000080
	s_add_u32 s60, s60, s61                                    // 000000004344: 803C3D3C
	v_add_u32_e32 v252, s60, v252                              // 000000004348: 69F9F83C
	v_add_u32_e32 v253, s71, v252                              // 00000000434C: 69FBF847
	s_mul_i32 s60, 4, s71                                      // 000000004350: 923C4784
	v_add_u32_e32 v254, s60, v252                              // 000000004354: 69FDF83C
	v_add_u32_e32 v255, s60, v253                              // 000000004358: 69FFFA3C
	v_lshrrev_b32_e32 v1, 2, v1                                // 00000000435C: 20020282
	v_lshrrev_b32_e32 v2, 2, v2                                // 000000004360: 20040482
	v_lshrrev_b32_e32 v3, 2, v3                                // 000000004364: 20060682
	v_lshrrev_b32_e32 v4, 2, v4                                // 000000004368: 20080882
	v_lshrrev_b32_e32 v252, 2, v252                            // 00000000436C: 21F9F882
	v_lshrrev_b32_e32 v253, 2, v253                            // 000000004370: 21FBFA82
	v_lshrrev_b32_e32 v254, 2, v254                            // 000000004374: 21FDFC82
	v_lshrrev_b32_e32 v255, 2, v255                            // 000000004378: 21FFFE82
	s_mul_i32 s60, 4, s59                                      // 00000000437C: 923C3B84
	v_and_b32_e32 v9, 15, v0                                   // 000000004380: 2612008F
	v_lshlrev_b32_e32 v9, 2, v9                                // 000000004384: 24121282
	v_add_u32_e32 v9, s60, v9                                  // 000000004388: 6812123C
	v_lshrrev_b32_e32 v9, 2, v9                                // 00000000438C: 20121282
	s_mov_b32 s70, s52                                         // 000000004390: BEC60034
	v_lshrrev_b32_e32 v28, 4, v0                               // 000000004394: 20380084
	v_mul_i32_i24_e32 v5, s70, v28                             // 000000004398: 0C0A3846
	v_lshrrev_b32_e32 v5, 2, v5                                // 00000000439C: 200A0A82
	v_and_b32_e32 v28, 15, v0                                  // 0000000043A0: 2638008F
	v_lshlrev_b32_e32 v29, 2, v28                              // 0000000043A4: 243A3882
	v_add_u32_e32 v5, v29, v5                                  // 0000000043A8: 680A0B1D
	s_mul_i32 s60, 16, s70                                     // 0000000043AC: 923C4690
	s_mul_i32 s60, s46, s60                                    // 0000000043B0: 923C3C2E
	v_lshlrev_b32_e32 v5, 2, v5                                // 0000000043B4: 240A0A82
	v_add_u32_e32 v5, s60, v5                                  // 0000000043B8: 680A0A3C
	s_mul_i32 s60, 0xc0, s52                                   // 0000000043BC: 923C34FF 000000C0
	s_mul_i32 s60, s2, s60                                     // 0000000043C4: 923C3C02
	s_mul_i32 s61, s3, s90                                     // 0000000043C8: 923D5A03
	s_mul_i32 s62, s4, s91                                     // 0000000043CC: 923E5B04
	s_add_u32 s60, s60, s61                                    // 0000000043D0: 803C3D3C
	s_add_u32 s60, s60, s62                                    // 0000000043D4: 803C3E3C
	v_add_u32_e32 v5, s60, v5                                  // 0000000043D8: 680A0A3C
	v_lshrrev_b32_e32 v5, 2, v5                                // 0000000043DC: 200A0A82
	s_mul_i32 s60, s50, s52                                    // 0000000043E0: 923C3432
	s_add_u32 s60, s60, s61                                    // 0000000043E4: 803C3D3C
	s_add_u32 s60, s60, s62                                    // 0000000043E8: 803C3E3C
	s_lshr_b32 s60, s60, 2                                     // 0000000043EC: 8F3C823C
	s_mov_b32 s38, s60                                         // 0000000043F0: BEA6003C
	s_mov_b32 s70, s53                                         // 0000000043F4: BEC60035
	v_lshrrev_b32_e32 v28, 4, v0                               // 0000000043F8: 20380084
	v_mul_i32_i24_e32 v6, s70, v28                             // 0000000043FC: 0C0C3846
	v_lshrrev_b32_e32 v6, 2, v6                                // 000000004400: 200C0C82
	v_and_b32_e32 v28, 15, v0                                  // 000000004404: 2638008F
	v_lshlrev_b32_e32 v29, 2, v28                              // 000000004408: 243A3882
	v_add_u32_e32 v6, v29, v6                                  // 00000000440C: 680C0D1D
	s_mul_i32 s60, 16, s70                                     // 000000004410: 923C4690
	s_mul_i32 s60, s46, s60                                    // 000000004414: 923C3C2E
	v_lshlrev_b32_e32 v6, 2, v6                                // 000000004418: 240C0C82
	v_add_u32_e32 v6, s60, v6                                  // 00000000441C: 680C0C3C
	s_mul_i32 s60, 0xc0, s53                                   // 000000004420: 923C35FF 000000C0
	s_mul_i32 s60, s2, s60                                     // 000000004428: 923C3C02
	s_mul_i32 s61, s3, s92                                     // 00000000442C: 923D5C03
	s_mul_i32 s62, s4, s93                                     // 000000004430: 923E5D04
	s_add_u32 s60, s60, s61                                    // 000000004434: 803C3D3C
	s_add_u32 s60, s60, s62                                    // 000000004438: 803C3E3C
	v_add_u32_e32 v6, s60, v6                                  // 00000000443C: 680C0C3C
	v_lshrrev_b32_e32 v6, 2, v6                                // 000000004440: 200C0C82
	s_mul_i32 s60, s50, s53                                    // 000000004444: 923C3532
	s_add_u32 s60, s60, s61                                    // 000000004448: 803C3D3C
	s_add_u32 s60, s60, s62                                    // 00000000444C: 803C3E3C
	s_lshr_b32 s60, s60, 2                                     // 000000004450: 8F3C823C
	s_mov_b32 s42, s60                                         // 000000004454: BEAA003C
	v_lshrrev_b32_e32 v28, 5, v0                               // 000000004458: 20380085
	v_mul_i32_i24_e64 v29, s96, 2                              // 00000000445C: D106001D 00010460
	v_mul_i32_i24_e32 v7, v29, v28                             // 000000004464: 0C0E391D
	v_and_b32_e32 v28, 31, v0                                  // 000000004468: 2638009F
	v_add_u32_e32 v7, v28, v7                                  // 00000000446C: 680E0F1C
	s_mul_i32 s60, 4, s96                                      // 000000004470: 923C6084
	s_mul_i32 s60, s46, s60                                    // 000000004474: 923C3C2E
	v_add_u32_e32 v7, s60, v7                                  // 000000004478: 680E0E3C
	v_lshlrev_b32_e32 v7, 2, v7                                // 00000000447C: 240E0E82
	v_mul_i32_i24_e32 v29, 2, v29                              // 000000004480: 0C3A3A82
	v_add_u32_e32 v8, v29, v7                                  // 000000004484: 68100F1D
	s_mul_i32 s60, 4, s59                                      // 000000004488: 923C3B84
	s_add_u32 s60, s65, s60                                    // 00000000448C: 803C3C41
	s_mul_i32 s72, s96, s60                                    // 000000004490: 92483C60
	s_add_u32 s32, s72, s32                                    // 000000004494: 80202048
	s_addc_u32 s33, 0, s33                                     // 000000004498: 82212180
	s_sub_i32 s60, s58, s59                                    // 00000000449C: 81BC3B3A
	s_mul_i32 s60, s96, s60                                    // 0000000044A0: 923C3C60
	s_lshl_b32 s60, s60, 2                                     // 0000000044A4: 8E3C823C
	s_mov_b32 s34, s60                                         // 0000000044A8: BEA2003C
	s_mul_i32 s60, 3, s2                                       // 0000000044AC: 923C0283
	s_add_u32 s61, s50, 63                                     // 0000000044B0: 803DBF32
	s_lshr_b32 s61, s61, 6                                     // 0000000044B4: 8F3D863D
	s_sub_i32 s73, s61, s60                                    // 0000000044B8: 81C93C3D
	s_cmp_lt_i32 s73, 3                                        // 0000000044BC: BF048349
	s_cselect_b32 s73, s73, 3                                  // 0000000044C0: 85498349
	v_mov_b32_e32 v249, 0xffff0000                             // 0000000044C4: 7FF202FF FFFF0000
	v_mov_b32_e32 v250, 0x7fff0000                             // 0000000044CC: 7FF402FF 7FFF0000
	v_mov_b32_e32 v251, 0x7fff                                 // 0000000044D4: 7FF602FF 00007FFF
	s_lshr_b32 s60, s46, 1                                     // 0000000044DC: 8F3C812E
	s_lshl_b32 s60, s60, 8                                     // 0000000044E0: 8E3C883C
	s_add_u32 s76, 0xc600, s60                                 // 0000000044E4: 804C3CFF 0000C600
	s_add_u32 s77, 0x200, s76                                  // 0000000044EC: 804D4CFF 00000200
	s_mov_b32 m0, s76                                          // 0000000044F4: BEFC004C
	v_lshrrev_b32_e32 v28, 2, v0                               // 0000000044F8: 20380082
	v_and_b32_e32 v29, 3, v28                                  // 0000000044FC: 263A3883
	v_lshrrev_b32_e32 v30, 3, v28                              // 000000004500: 203C3883
	v_lshlrev_b32_e32 v30, 2, v30                              // 000000004504: 243C3C82
	v_add_u32_e32 v28, v30, v29                                // 000000004508: 68383B1E
	s_lshr_b32 s60, s46, 1                                     // 00000000450C: 8F3C812E
	s_sub_i32 s60, 1, s60                                      // 000000004510: 81BC3C81
	v_mul_i32_i24_e64 v29, s60, 8                              // 000000004514: D106001D 0001103C
	v_mov_b32_e32 v30, s96                                     // 00000000451C: 7E3C0260
	v_sub_u32_e64 v30, v30, 64                                 // 000000004520: D135001E 0001811E
	v_lshrrev_b32_e32 v30, 3, v30                              // 000000004528: 203C3C83
	v_add_u32_e32 v29, v30, v29                                // 00000000452C: 683A3B1E
	v_cmp_lt_u32_e64 s[88:89], v28, v29                        // 000000004530: D0C90058 00023B1C
	s_mov_b32 s86, -1                                          // 000000004538: BED600C1
	s_mov_b32 s87, -1                                          // 00000000453C: BED700C1
	v_and_b32_e32 v28, 15, v0                                  // 000000004540: 2638008F
	v_mov_b32_e32 v29, s96                                     // 000000004544: 7E3A0260
	v_lshrrev_b32_e32 v29, 3, v29                              // 000000004548: 203A3A83
	v_cmp_lt_u32_e64 s[90:91], v28, v29                        // 00000000454C: D0C9005A 00023B1C
	s_sub_i32 s94, s50, s80                                    // 000000004554: 81DE5032
	v_and_b32_e32 v28, 31, v0                                  // 000000004558: 2638009F
	v_lshrrev_b32_e32 v28, 1, v28                              // 00000000455C: 20383881
	v_and_b32_e32 v29, 1, v28                                  // 000000004560: 263A3881
	v_lshlrev_b32_e32 v29, 4, v29                              // 000000004564: 243A3A84
	v_and_b32_e32 v30, 2, v28                                  // 000000004568: 263C3882
	v_lshlrev_b32_e32 v30, 2, v30                              // 00000000456C: 243C3C82
	v_add_u32_e32 v29, v30, v29                                // 000000004570: 683A3B1E
	v_and_b32_e32 v30, 12, v28                                 // 000000004574: 263C388C
	v_lshrrev_b32_e32 v30, 1, v30                              // 000000004578: 203C3C81
	v_add_u32_e32 v29, v30, v29                                // 00000000457C: 683A3B1E
	v_lshrrev_b32_e32 v28, 5, v0                               // 000000004580: 20380085
	v_mul_i32_i24_e32 v30, 0x80, v28                           // 000000004584: 0C3C38FF 00000080
	v_add_u32_e32 v29, v30, v29                                // 00000000458C: 683A3B1E
	v_and_b32_e32 v30, 1, v0                                   // 000000004590: 263C0081
	v_add_u32_e32 v11, v30, v29                                // 000000004594: 68163B1E
	s_and_b32 s60, 1, s46                                      // 000000004598: 863C2E81
	s_mul_i32 s60, s60, 64                                     // 00000000459C: 923CC03C
	s_lshr_b32 s61, s46, 1                                     // 0000000045A0: 8F3D812E
	s_mul_i32 s61, s61, 0x220                                  // 0000000045A4: 923DFF3D 00000220
	s_add_u32 s60, s60, s61                                    // 0000000045AC: 803C3D3C
	v_add_u32_e32 v11, s60, v11                                // 0000000045B0: 6816163C
	v_lshlrev_b32_e32 v11, 2, v11                              // 0000000045B4: 24161682
	v_lshrrev_b32_e32 v28, 4, v0                               // 0000000045B8: 20380084
	v_and_b32_e32 v29, 1, v28                                  // 0000000045BC: 263A3881
	v_lshlrev_b32_e32 v29, 4, v29                              // 0000000045C0: 243A3A84
	v_and_b32_e32 v30, 2, v28                                  // 0000000045C4: 263C3882
	v_mul_i32_i24_e32 v30, 4, v30                              // 0000000045C8: 0C3C3C84
	v_add_u32_e32 v29, v30, v29                                // 0000000045CC: 683A3B1E
	v_and_b32_e32 v28, 15, v0                                  // 0000000045D0: 2638008F
	v_lshrrev_b32_e32 v30, 2, v28                              // 0000000045D4: 203C3882
	v_lshlrev_b32_e32 v30, 5, v30                              // 0000000045D8: 243C3C85
	v_add_u32_e32 v29, v30, v29                                // 0000000045DC: 683A3B1E
	v_and_b32_e32 v28, 3, v0                                   // 0000000045E0: 26380083
	v_and_b32_e32 v30, 1, v28                                  // 0000000045E4: 263C3881
	v_mul_i32_i24_e32 v30, 0x108, v30                          // 0000000045E8: 0C3C3CFF 00000108
	v_add_u32_e32 v29, v30, v29                                // 0000000045F0: 683A3B1E
	v_and_b32_e32 v30, 2, v28                                  // 0000000045F4: 263C3882
	v_lshlrev_b32_e32 v30, 1, v30                              // 0000000045F8: 243C3C81
	v_add_u32_e32 v10, v30, v29                                // 0000000045FC: 68143B1E
	v_lshlrev_b32_e32 v10, 2, v10                              // 000000004600: 24141482
	s_mul_i32 s60, s46, 0x1100                                 // 000000004604: 923CFF2E 00001100
	v_add_u32_e32 v22, s60, v10                                // 00000000460C: 682C143C
	v_lshrrev_b32_e32 v28, 5, v0                               // 000000004610: 20380085
	v_mul_i32_i24_e32 v13, 0x80, v28                           // 000000004614: 0C1A38FF 00000080
	v_and_b32_e32 v28, 31, v0                                  // 00000000461C: 2638009F
	v_and_b32_e32 v29, 7, v28                                  // 000000004620: 263A3887
	v_and_b32_e32 v30, 1, v29                                  // 000000004624: 263C3A81
	v_lshlrev_b32_e32 v30, 2, v30                              // 000000004628: 243C3C82
	v_add_u32_e32 v13, v30, v13                                // 00000000462C: 681A1B1E
	v_and_b32_e32 v30, 2, v29                                  // 000000004630: 263C3A82
	v_lshlrev_b32_e32 v30, 3, v30                              // 000000004634: 243C3C83
	v_add_u32_e32 v13, v30, v13                                // 000000004638: 681A1B1E
	v_and_b32_e32 v30, 4, v29                                  // 00000000463C: 263C3A84
	v_lshlrev_b32_e32 v30, 1, v30                              // 000000004640: 243C3C81
	v_add_u32_e32 v13, v30, v13                                // 000000004644: 681A1B1E
	v_lshrrev_b32_e32 v29, 3, v28                              // 000000004648: 203A3883
	v_and_b32_e32 v30, 1, v29                                  // 00000000464C: 263C3A81
	v_lshlrev_b32_e32 v30, 1, v30                              // 000000004650: 243C3C81
	v_add_u32_e32 v13, v30, v13                                // 000000004654: 681A1B1E
	v_and_b32_e32 v30, 2, v29                                  // 000000004658: 263C3A82
	v_lshrrev_b32_e32 v30, 1, v30                              // 00000000465C: 203C3C81
	v_add_u32_e32 v13, v30, v13                                // 000000004660: 681A1B1E
	s_and_b32 s60, 1, s46                                      // 000000004664: 863C2E81
	s_mul_i32 s60, s60, 64                                     // 000000004668: 923CC03C
	s_lshr_b32 s61, s46, 1                                     // 00000000466C: 8F3D812E
	s_mul_i32 s61, s61, 0x220                                  // 000000004670: 923DFF3D 00000220
	s_add_u32 s60, s60, s61                                    // 000000004678: 803C3D3C
	v_add_u32_e32 v13, s60, v13                                // 00000000467C: 681A1A3C
	v_lshlrev_b32_e32 v13, 2, v13                              // 000000004680: 241A1A82
	v_and_b32_e32 v28, 15, v0                                  // 000000004684: 2638008F
	v_and_b32_e32 v30, 1, v28                                  // 000000004688: 263C3881
	v_mul_i32_i24_e32 v12, 0x108, v30                          // 00000000468C: 0C183CFF 00000108
	v_and_b32_e32 v30, 2, v28                                  // 000000004694: 263C3882
	v_lshlrev_b32_e32 v30, 1, v30                              // 000000004698: 243C3C81
	v_add_u32_e32 v12, v30, v12                                // 00000000469C: 6818191E
	v_and_b32_e32 v30, 4, v28                                  // 0000000046A0: 263C3884
	v_lshlrev_b32_e32 v30, 2, v30                              // 0000000046A4: 243C3C82
	v_add_u32_e32 v12, v30, v12                                // 0000000046A8: 6818191E
	v_and_b32_e32 v30, 8, v28                                  // 0000000046AC: 263C3888
	v_add_u32_e32 v12, v30, v12                                // 0000000046B0: 6818191E
	v_lshrrev_b32_e32 v28, 4, v0                               // 0000000046B4: 20380084
	v_and_b32_e32 v30, 1, v28                                  // 0000000046B8: 263C3881
	v_lshlrev_b32_e32 v30, 5, v30                              // 0000000046BC: 243C3C85
	v_add_u32_e32 v12, v30, v12                                // 0000000046C0: 6818191E
	v_and_b32_e32 v29, 2, v28                                  // 0000000046C4: 263A3882
	v_mul_i32_i24_e32 v30, 32, v29                             // 0000000046C8: 0C3C3AA0
	v_mul_i32_i24_e32 v29, 0x220, v29                          // 0000000046CC: 0C3A3AFF 00000220
	v_add_u32_e32 v23, v29, v12                                // 0000000046D4: 682E191D
	v_add_u32_e32 v12, v30, v12                                // 0000000046D8: 6818191E
	v_lshlrev_b32_e32 v12, 2, v12                              // 0000000046DC: 24181882
	v_lshlrev_b32_e32 v23, 2, v23                              // 0000000046E0: 242E2E82
	s_and_b32 s60, 1, s46                                      // 0000000046E4: 863C2E81
	s_mul_i32 s60, s60, 0x200                                  // 0000000046E8: 923CFF3C 00000200
	s_lshr_b32 s61, s46, 1                                     // 0000000046F0: 8F3D812E
	s_mul_i32 s61, s61, 0x880                                  // 0000000046F4: 923DFF3D 00000880
	s_add_u32 s60, s60, s61                                    // 0000000046FC: 803C3D3C
	v_add_u32_e32 v23, s60, v23                                // 000000004700: 682E2E3C
	v_lshrrev_b32_e32 v28, 4, v0                               // 000000004704: 20380084
	v_mul_i32_i24_e32 v21, 4, v28                              // 000000004708: 0C2A3884
	v_and_b32_e32 v29, 3, v0                                   // 00000000470C: 263A0083
	v_add_u32_e32 v21, v29, v21                                // 000000004710: 682A2B1D
	v_lshlrev_b32_e32 v21, 2, v21                              // 000000004714: 242A2A82
	v_lshrrev_b32_e32 v28, 4, v0                               // 000000004718: 20380084
	v_and_b32_e32 v29, 1, v28                                  // 00000000471C: 263A3881
	v_mul_i32_i24_e32 v19, 0x100, v29                          // 000000004720: 0C263AFF 00000100
	v_and_b32_e32 v29, 2, v28                                  // 000000004728: 263A3882
	v_mul_i32_i24_e32 v29, 64, v29                             // 00000000472C: 0C3A3AC0
	v_add_u32_e32 v19, v29, v19                                // 000000004730: 6826271D
	v_and_b32_e32 v28, 15, v0                                  // 000000004734: 2638008F
	v_mul_i32_i24_e32 v29, 2, v28                              // 000000004738: 0C3A3882
	v_add_u32_e32 v19, v29, v19                                // 00000000473C: 6826271D
	s_mul_i32 s60, s46, 32                                     // 000000004740: 923CA02E
	v_add_u32_e32 v19, s60, v19                                // 000000004744: 6826263C
	v_lshlrev_b32_e32 v19, 2, v19                              // 000000004748: 24262682
	v_lshlrev_b32_e32 v20, 1, v0                               // 00000000474C: 24280081
	s_mul_i32 s60, s46, 0x200                                  // 000000004750: 923CFF2E 00000200
	v_add_u32_e32 v20, s60, v20                                // 000000004758: 6828283C
	v_lshlrev_b32_e32 v20, 2, v20                              // 00000000475C: 24282882
	v_lshrrev_b32_e32 v28, 5, v0                               // 000000004760: 20380085
	v_mul_i32_i24_e32 v17, 64, v28                             // 000000004764: 0C2238C0
	v_and_b32_e32 v28, 31, v0                                  // 000000004768: 2638009F
	v_and_b32_e32 v28, 3, v28                                  // 00000000476C: 26383883
	v_and_b32_e32 v29, 1, v28                                  // 000000004770: 263A3881
	v_mul_i32_i24_e32 v29, 4, v29                              // 000000004774: 0C3A3A84
	v_add_u32_e32 v17, v29, v17                                // 000000004778: 6822231D
	v_and_b32_e32 v29, 2, v28                                  // 00000000477C: 263A3882
	v_mul_i32_i24_e32 v29, 0x44, v29                           // 000000004780: 0C3A3AFF 00000044
	v_add_u32_e32 v17, v29, v17                                // 000000004788: 6822231D
	v_and_b32_e32 v28, 31, v0                                  // 00000000478C: 2638009F
	v_lshrrev_b32_e32 v28, 2, v28                              // 000000004790: 20383882
	v_lshrrev_b32_e32 v30, 2, v28                              // 000000004794: 203C3882
	v_mul_i32_i24_e32 v29, 16, v30                             // 000000004798: 0C3A3C90
	v_add_u32_e32 v17, v29, v17                                // 00000000479C: 6822231D
	v_and_b32_e32 v29, 2, v28                                  // 0000000047A0: 263A3882
	v_lshlrev_b32_e32 v29, 4, v29                              // 0000000047A4: 243A3A84
	v_add_u32_e32 v17, v29, v17                                // 0000000047A8: 6822231D
	v_and_b32_e32 v29, 1, v28                                  // 0000000047AC: 263A3881
	v_xor_b32_e32 v29, v30, v29                                // 0000000047B0: 2A3A3B1E
	v_mul_i32_i24_e32 v29, 8, v29                              // 0000000047B4: 0C3A3A88
	v_add_u32_e32 v17, v29, v17                                // 0000000047B8: 6822231D
	v_lshlrev_b32_e32 v17, 2, v17                              // 0000000047BC: 24222282
	v_lshrrev_b32_e32 v28, 5, v0                               // 0000000047C0: 20380085
	v_mul_i32_i24_e32 v18, 32, v28                             // 0000000047C4: 0C2438A0
	v_and_b32_e32 v28, 31, v0                                  // 0000000047C8: 2638009F
	v_and_b32_e32 v28, 3, v28                                  // 0000000047CC: 26383883
	v_and_b32_e32 v29, 1, v28                                  // 0000000047D0: 263A3881
	v_mul_i32_i24_e32 v29, 4, v29                              // 0000000047D4: 0C3A3A84
	v_add_u32_e32 v18, v29, v18                                // 0000000047D8: 6824251D
	v_and_b32_e32 v29, 2, v28                                  // 0000000047DC: 263A3882
	v_lshrrev_b32_e32 v29, 1, v29                              // 0000000047E0: 203A3A81
	v_add_u32_e32 v18, v29, v18                                // 0000000047E4: 6824251D
	v_and_b32_e32 v28, 31, v0                                  // 0000000047E8: 2638009F
	v_lshrrev_b32_e32 v28, 2, v28                              // 0000000047EC: 20383882
	v_and_b32_e32 v30, 1, v28                                  // 0000000047F0: 263C3881
	v_mul_i32_i24_e32 v29, 16, v30                             // 0000000047F4: 0C3A3C90
	v_add_u32_e32 v18, v29, v18                                // 0000000047F8: 6824251D
	v_and_b32_e32 v29, 2, v28                                  // 0000000047FC: 263A3882
	v_add_u32_e32 v18, v29, v18                                // 000000004800: 6824251D
	v_lshrrev_b32_e32 v29, 2, v28                              // 000000004804: 203A3882
	v_xor_b32_e32 v29, v30, v29                                // 000000004808: 2A3A3B1E
	v_mul_i32_i24_e32 v29, 8, v29                              // 00000000480C: 0C3A3A88
	v_add_u32_e32 v18, v29, v18                                // 000000004810: 6824251D
	s_and_b32 s60, 1, s46                                      // 000000004814: 863C2E81
	s_mul_i32 s60, s60, 64                                     // 000000004818: 923CC03C
	s_lshr_b32 s61, s46, 1                                     // 00000000481C: 8F3D812E
	s_mul_i32 s61, s61, 0x120                                  // 000000004820: 923DFF3D 00000120
	s_add_u32 s60, s60, s61                                    // 000000004828: 803C3D3C
	v_add_u32_e32 v18, s60, v18                                // 00000000482C: 6824243C
	v_lshlrev_b32_e32 v18, 2, v18                              // 000000004830: 24242482
	v_mov_b32_e32 v152, 0                                      // 000000004834: 7F300280
	s_mov_b64 exec, s[88:89]                                   // 000000004838: BEFE0158
	buffer_load_dword v152, v1, s[12:15], 0 idxen              // 00000000483C: E0502000 80039801
	s_mov_b64 exec, s[86:87]                                   // 000000004844: BEFE0156
	v_mov_b32_e32 v153, 0                                      // 000000004848: 7F320280
	s_mov_b64 exec, s[88:89]                                   // 00000000484C: BEFE0158
	buffer_load_dword v153, v2, s[12:15], 0 idxen              // 000000004850: E0502000 80039902
	s_mov_b64 exec, s[86:87]                                   // 000000004858: BEFE0156
	v_mov_b32_e32 v154, 0                                      // 00000000485C: 7F340280
	s_mov_b64 exec, s[88:89]                                   // 000000004860: BEFE0158
	buffer_load_dword v154, v3, s[12:15], 0 idxen              // 000000004864: E0502000 80039A03
	s_mov_b64 exec, s[86:87]                                   // 00000000486C: BEFE0156
	v_mov_b32_e32 v155, 0                                      // 000000004870: 7F360280
	s_mov_b64 exec, s[88:89]                                   // 000000004874: BEFE0158
	buffer_load_dword v155, v4, s[12:15], 0 idxen              // 000000004878: E0502000 80039B04
	s_mov_b64 exec, s[86:87]                                   // 000000004880: BEFE0156
	s_mul_i32 s60, 4, s6                                       // 000000004884: 923C0684
	s_cmp_lt_i32 0, s73                                        // 000000004888: BF044980
	s_cselect_b32 s60, s60, 0                                  // 00000000488C: 853C803C
	v_add_u32_e32 v1, s60, v1                                  // 000000004890: 6802023C
	v_add_u32_e32 v2, s60, v2                                  // 000000004894: 6804043C
	v_add_u32_e32 v3, s60, v3                                  // 000000004898: 6806063C
	v_add_u32_e32 v4, s60, v4                                  // 00000000489C: 6808083C
	v_mov_b32_e32 v156, 0                                      // 0000000048A0: 7F380280
	s_mov_b64 exec, s[88:89]                                   // 0000000048A4: BEFE0158
	buffer_load_dword v156, v1, s[12:15], 0 idxen              // 0000000048A8: E0502000 80039C01
	s_mov_b64 exec, s[86:87]                                   // 0000000048B0: BEFE0156
	v_mov_b32_e32 v157, 0                                      // 0000000048B4: 7F3A0280
	s_mov_b64 exec, s[88:89]                                   // 0000000048B8: BEFE0158
	buffer_load_dword v157, v2, s[12:15], 0 idxen              // 0000000048BC: E0502000 80039D02
	s_mov_b64 exec, s[86:87]                                   // 0000000048C4: BEFE0156
	v_mov_b32_e32 v158, 0                                      // 0000000048C8: 7F3C0280
	s_mov_b64 exec, s[88:89]                                   // 0000000048CC: BEFE0158
	buffer_load_dword v158, v3, s[12:15], 0 idxen              // 0000000048D0: E0502000 80039E03
	s_mov_b64 exec, s[86:87]                                   // 0000000048D8: BEFE0156
	v_mov_b32_e32 v159, 0                                      // 0000000048DC: 7F3E0280
	s_mov_b64 exec, s[88:89]                                   // 0000000048E0: BEFE0158
	buffer_load_dword v159, v4, s[12:15], 0 idxen              // 0000000048E4: E0502000 80039F04
	s_mov_b64 exec, s[86:87]                                   // 0000000048EC: BEFE0156
	s_mul_i32 s60, 4, s6                                       // 0000000048F0: 923C0684
	s_cmp_lt_i32 0, s73                                        // 0000000048F4: BF044980
	s_cselect_b32 s60, s60, 0                                  // 0000000048F8: 853C803C
	v_add_u32_e32 v1, s60, v1                                  // 0000000048FC: 6802023C
	v_add_u32_e32 v2, s60, v2                                  // 000000004900: 6804043C
	v_add_u32_e32 v3, s60, v3                                  // 000000004904: 6806063C
	v_add_u32_e32 v4, s60, v4                                  // 000000004908: 6808083C
	v_mov_b32_e32 v160, 0                                      // 00000000490C: 7F400280
	s_mov_b64 exec, s[88:89]                                   // 000000004910: BEFE0158
	buffer_load_dword v160, v1, s[12:15], 0 idxen              // 000000004914: E0502000 8003A001
	s_mov_b64 exec, s[86:87]                                   // 00000000491C: BEFE0156
	v_mov_b32_e32 v161, 0                                      // 000000004920: 7F420280
	s_mov_b64 exec, s[88:89]                                   // 000000004924: BEFE0158
	buffer_load_dword v161, v2, s[12:15], 0 idxen              // 000000004928: E0502000 8003A102
	s_mov_b64 exec, s[86:87]                                   // 000000004930: BEFE0156
	v_mov_b32_e32 v162, 0                                      // 000000004934: 7F440280
	s_mov_b64 exec, s[88:89]                                   // 000000004938: BEFE0158
	buffer_load_dword v162, v3, s[12:15], 0 idxen              // 00000000493C: E0502000 8003A203
	s_mov_b64 exec, s[86:87]                                   // 000000004944: BEFE0156
	v_mov_b32_e32 v163, 0                                      // 000000004948: 7F460280
	s_mov_b64 exec, s[88:89]                                   // 00000000494C: BEFE0158
	buffer_load_dword v163, v4, s[12:15], 0 idxen              // 000000004950: E0502000 8003A304
	s_mov_b64 exec, s[86:87]                                   // 000000004958: BEFE0156
	s_mul_i32 s60, 4, s6                                       // 00000000495C: 923C0684
	s_cmp_lt_i32 0, s73                                        // 000000004960: BF044980
	s_cselect_b32 s60, s60, 0                                  // 000000004964: 853C803C
	v_add_u32_e32 v1, s60, v1                                  // 000000004968: 6802023C
	v_add_u32_e32 v2, s60, v2                                  // 00000000496C: 6804043C
	v_add_u32_e32 v3, s60, v3                                  // 000000004970: 6806063C
	v_add_u32_e32 v4, s60, v4                                  // 000000004974: 6808083C
	v_mov_b32_e32 v164, 0                                      // 000000004978: 7F480280
	s_mov_b64 exec, s[88:89]                                   // 00000000497C: BEFE0158
	buffer_load_dword v164, v1, s[12:15], 0 idxen              // 000000004980: E0502000 8003A401
	s_mov_b64 exec, s[86:87]                                   // 000000004988: BEFE0156
	v_mov_b32_e32 v165, 0                                      // 00000000498C: 7F4A0280
	s_mov_b64 exec, s[88:89]                                   // 000000004990: BEFE0158
	buffer_load_dword v165, v2, s[12:15], 0 idxen              // 000000004994: E0502000 8003A502
	s_mov_b64 exec, s[86:87]                                   // 00000000499C: BEFE0156
	v_mov_b32_e32 v166, 0                                      // 0000000049A0: 7F4C0280
	s_mov_b64 exec, s[88:89]                                   // 0000000049A4: BEFE0158
	buffer_load_dword v166, v3, s[12:15], 0 idxen              // 0000000049A8: E0502000 8003A603
	s_mov_b64 exec, s[86:87]                                   // 0000000049B0: BEFE0156
	v_mov_b32_e32 v167, 0                                      // 0000000049B4: 7F4E0280
	s_mov_b64 exec, s[88:89]                                   // 0000000049B8: BEFE0158
	buffer_load_dword v167, v4, s[12:15], 0 idxen              // 0000000049BC: E0502000 8003A704
	s_mov_b64 exec, s[86:87]                                   // 0000000049C4: BEFE0156
	s_mul_i32 s60, 4, s6                                       // 0000000049C8: 923C0684
	s_cmp_lt_i32 1, s73                                        // 0000000049CC: BF044981
	s_cselect_b32 s60, s60, 0                                  // 0000000049D0: 853C803C
	v_add_u32_e32 v1, s60, v1                                  // 0000000049D4: 6802023C
	v_add_u32_e32 v2, s60, v2                                  // 0000000049D8: 6804043C
	v_add_u32_e32 v3, s60, v3                                  // 0000000049DC: 6806063C
	v_add_u32_e32 v4, s60, v4                                  // 0000000049E0: 6808083C
	v_mov_b32_e32 v168, 0                                      // 0000000049E4: 7F500280
	s_mov_b64 exec, s[88:89]                                   // 0000000049E8: BEFE0158
	buffer_load_dword v168, v1, s[12:15], 0 idxen              // 0000000049EC: E0502000 8003A801
	s_mov_b64 exec, s[86:87]                                   // 0000000049F4: BEFE0156
	v_mov_b32_e32 v169, 0                                      // 0000000049F8: 7F520280
	s_mov_b64 exec, s[88:89]                                   // 0000000049FC: BEFE0158
	buffer_load_dword v169, v2, s[12:15], 0 idxen              // 000000004A00: E0502000 8003A902
	s_mov_b64 exec, s[86:87]                                   // 000000004A08: BEFE0156
	v_mov_b32_e32 v170, 0                                      // 000000004A0C: 7F540280
	s_mov_b64 exec, s[88:89]                                   // 000000004A10: BEFE0158
	buffer_load_dword v170, v3, s[12:15], 0 idxen              // 000000004A14: E0502000 8003AA03
	s_mov_b64 exec, s[86:87]                                   // 000000004A1C: BEFE0156
	v_mov_b32_e32 v171, 0                                      // 000000004A20: 7F560280
	s_mov_b64 exec, s[88:89]                                   // 000000004A24: BEFE0158
	buffer_load_dword v171, v4, s[12:15], 0 idxen              // 000000004A28: E0502000 8003AB04
	s_mov_b64 exec, s[86:87]                                   // 000000004A30: BEFE0156
	s_mul_i32 s60, 4, s6                                       // 000000004A34: 923C0684
	s_cmp_lt_i32 1, s73                                        // 000000004A38: BF044981
	s_cselect_b32 s60, s60, 0                                  // 000000004A3C: 853C803C
	v_add_u32_e32 v1, s60, v1                                  // 000000004A40: 6802023C
	v_add_u32_e32 v2, s60, v2                                  // 000000004A44: 6804043C
	v_add_u32_e32 v3, s60, v3                                  // 000000004A48: 6806063C
	v_add_u32_e32 v4, s60, v4                                  // 000000004A4C: 6808083C
	v_mov_b32_e32 v172, 0                                      // 000000004A50: 7F580280
	s_mov_b64 exec, s[88:89]                                   // 000000004A54: BEFE0158
	buffer_load_dword v172, v1, s[12:15], 0 idxen              // 000000004A58: E0502000 8003AC01
	s_mov_b64 exec, s[86:87]                                   // 000000004A60: BEFE0156
	v_mov_b32_e32 v173, 0                                      // 000000004A64: 7F5A0280
	s_mov_b64 exec, s[88:89]                                   // 000000004A68: BEFE0158
	buffer_load_dword v173, v2, s[12:15], 0 idxen              // 000000004A6C: E0502000 8003AD02
	s_mov_b64 exec, s[86:87]                                   // 000000004A74: BEFE0156
	v_mov_b32_e32 v174, 0                                      // 000000004A78: 7F5C0280
	s_mov_b64 exec, s[88:89]                                   // 000000004A7C: BEFE0158
	buffer_load_dword v174, v3, s[12:15], 0 idxen              // 000000004A80: E0502000 8003AE03
	s_mov_b64 exec, s[86:87]                                   // 000000004A88: BEFE0156
	v_mov_b32_e32 v175, 0                                      // 000000004A8C: 7F5E0280
	s_mov_b64 exec, s[88:89]                                   // 000000004A90: BEFE0158
	buffer_load_dword v175, v4, s[12:15], 0 idxen              // 000000004A94: E0502000 8003AF04
	s_mov_b64 exec, s[86:87]                                   // 000000004A9C: BEFE0156
	s_mul_i32 s60, 4, s6                                       // 000000004AA0: 923C0684
	s_cmp_lt_i32 1, s73                                        // 000000004AA4: BF044981
	s_cselect_b32 s60, s60, 0                                  // 000000004AA8: 853C803C
	v_add_u32_e32 v1, s60, v1                                  // 000000004AAC: 6802023C
	v_add_u32_e32 v2, s60, v2                                  // 000000004AB0: 6804043C
	v_add_u32_e32 v3, s60, v3                                  // 000000004AB4: 6806063C
	v_add_u32_e32 v4, s60, v4                                  // 000000004AB8: 6808083C
	v_mov_b32_e32 v176, 0                                      // 000000004ABC: 7F600280
	s_mov_b64 exec, s[88:89]                                   // 000000004AC0: BEFE0158
	buffer_load_dword v176, v1, s[12:15], 0 idxen              // 000000004AC4: E0502000 8003B001
	s_mov_b64 exec, s[86:87]                                   // 000000004ACC: BEFE0156
	v_mov_b32_e32 v177, 0                                      // 000000004AD0: 7F620280
	s_mov_b64 exec, s[88:89]                                   // 000000004AD4: BEFE0158
	buffer_load_dword v177, v2, s[12:15], 0 idxen              // 000000004AD8: E0502000 8003B102
	s_mov_b64 exec, s[86:87]                                   // 000000004AE0: BEFE0156
	v_mov_b32_e32 v178, 0                                      // 000000004AE4: 7F640280
	s_mov_b64 exec, s[88:89]                                   // 000000004AE8: BEFE0158
	buffer_load_dword v178, v3, s[12:15], 0 idxen              // 000000004AEC: E0502000 8003B203
	s_mov_b64 exec, s[86:87]                                   // 000000004AF4: BEFE0156
	v_mov_b32_e32 v179, 0                                      // 000000004AF8: 7F660280
	s_mov_b64 exec, s[88:89]                                   // 000000004AFC: BEFE0158
	buffer_load_dword v179, v4, s[12:15], 0 idxen              // 000000004B00: E0502000 8003B304
	s_mov_b64 exec, s[86:87]                                   // 000000004B08: BEFE0156
	s_mul_i32 s60, 4, s6                                       // 000000004B0C: 923C0684
	s_cmp_lt_i32 1, s73                                        // 000000004B10: BF044981
	s_cselect_b32 s60, s60, 0                                  // 000000004B14: 853C803C
	v_add_u32_e32 v1, s60, v1                                  // 000000004B18: 6802023C
	v_add_u32_e32 v2, s60, v2                                  // 000000004B1C: 6804043C
	v_add_u32_e32 v3, s60, v3                                  // 000000004B20: 6806063C
	v_add_u32_e32 v4, s60, v4                                  // 000000004B24: 6808083C
	v_mov_b32_e32 v180, 0                                      // 000000004B28: 7F680280
	s_mov_b64 exec, s[88:89]                                   // 000000004B2C: BEFE0158
	buffer_load_dword v180, v1, s[12:15], 0 idxen              // 000000004B30: E0502000 8003B401
	s_mov_b64 exec, s[86:87]                                   // 000000004B38: BEFE0156
	v_mov_b32_e32 v181, 0                                      // 000000004B3C: 7F6A0280
	s_mov_b64 exec, s[88:89]                                   // 000000004B40: BEFE0158
	buffer_load_dword v181, v2, s[12:15], 0 idxen              // 000000004B44: E0502000 8003B502
	s_mov_b64 exec, s[86:87]                                   // 000000004B4C: BEFE0156
	v_mov_b32_e32 v182, 0                                      // 000000004B50: 7F6C0280
	s_mov_b64 exec, s[88:89]                                   // 000000004B54: BEFE0158
	buffer_load_dword v182, v3, s[12:15], 0 idxen              // 000000004B58: E0502000 8003B603
	s_mov_b64 exec, s[86:87]                                   // 000000004B60: BEFE0156
	v_mov_b32_e32 v183, 0                                      // 000000004B64: 7F6E0280
	s_mov_b64 exec, s[88:89]                                   // 000000004B68: BEFE0158
	buffer_load_dword v183, v4, s[12:15], 0 idxen              // 000000004B6C: E0502000 8003B704
	s_mov_b64 exec, s[86:87]                                   // 000000004B74: BEFE0156
	s_mul_i32 s60, 4, s6                                       // 000000004B78: 923C0684
	s_cmp_lt_i32 2, s73                                        // 000000004B7C: BF044982
	s_cselect_b32 s60, s60, 0                                  // 000000004B80: 853C803C
	v_add_u32_e32 v1, s60, v1                                  // 000000004B84: 6802023C
	v_add_u32_e32 v2, s60, v2                                  // 000000004B88: 6804043C
	v_add_u32_e32 v3, s60, v3                                  // 000000004B8C: 6806063C
	v_add_u32_e32 v4, s60, v4                                  // 000000004B90: 6808083C
	v_mov_b32_e32 v184, 0                                      // 000000004B94: 7F700280
	s_mov_b64 exec, s[88:89]                                   // 000000004B98: BEFE0158
	buffer_load_dword v184, v1, s[12:15], 0 idxen              // 000000004B9C: E0502000 8003B801
	s_mov_b64 exec, s[86:87]                                   // 000000004BA4: BEFE0156
	v_mov_b32_e32 v185, 0                                      // 000000004BA8: 7F720280
	s_mov_b64 exec, s[88:89]                                   // 000000004BAC: BEFE0158
	buffer_load_dword v185, v2, s[12:15], 0 idxen              // 000000004BB0: E0502000 8003B902
	s_mov_b64 exec, s[86:87]                                   // 000000004BB8: BEFE0156
	v_mov_b32_e32 v186, 0                                      // 000000004BBC: 7F740280
	s_mov_b64 exec, s[88:89]                                   // 000000004BC0: BEFE0158
	buffer_load_dword v186, v3, s[12:15], 0 idxen              // 000000004BC4: E0502000 8003BA03
	s_mov_b64 exec, s[86:87]                                   // 000000004BCC: BEFE0156
	v_mov_b32_e32 v187, 0                                      // 000000004BD0: 7F760280
	s_mov_b64 exec, s[88:89]                                   // 000000004BD4: BEFE0158
	buffer_load_dword v187, v4, s[12:15], 0 idxen              // 000000004BD8: E0502000 8003BB04
	s_mov_b64 exec, s[86:87]                                   // 000000004BE0: BEFE0156
	s_mul_i32 s60, 4, s6                                       // 000000004BE4: 923C0684
	s_cmp_lt_i32 2, s73                                        // 000000004BE8: BF044982
	s_cselect_b32 s60, s60, 0                                  // 000000004BEC: 853C803C
	v_add_u32_e32 v1, s60, v1                                  // 000000004BF0: 6802023C
	v_add_u32_e32 v2, s60, v2                                  // 000000004BF4: 6804043C
	v_add_u32_e32 v3, s60, v3                                  // 000000004BF8: 6806063C
	v_add_u32_e32 v4, s60, v4                                  // 000000004BFC: 6808083C
	v_mov_b32_e32 v188, 0                                      // 000000004C00: 7F780280
	s_mov_b64 exec, s[88:89]                                   // 000000004C04: BEFE0158
	buffer_load_dword v188, v1, s[12:15], 0 idxen              // 000000004C08: E0502000 8003BC01
	s_mov_b64 exec, s[86:87]                                   // 000000004C10: BEFE0156
	v_mov_b32_e32 v189, 0                                      // 000000004C14: 7F7A0280
	s_mov_b64 exec, s[88:89]                                   // 000000004C18: BEFE0158
	buffer_load_dword v189, v2, s[12:15], 0 idxen              // 000000004C1C: E0502000 8003BD02
	s_mov_b64 exec, s[86:87]                                   // 000000004C24: BEFE0156
	v_mov_b32_e32 v190, 0                                      // 000000004C28: 7F7C0280
	s_mov_b64 exec, s[88:89]                                   // 000000004C2C: BEFE0158
	buffer_load_dword v190, v3, s[12:15], 0 idxen              // 000000004C30: E0502000 8003BE03
	s_mov_b64 exec, s[86:87]                                   // 000000004C38: BEFE0156
	v_mov_b32_e32 v191, 0                                      // 000000004C3C: 7F7E0280
	s_mov_b64 exec, s[88:89]                                   // 000000004C40: BEFE0158
	buffer_load_dword v191, v4, s[12:15], 0 idxen              // 000000004C44: E0502000 8003BF04
	s_mov_b64 exec, s[86:87]                                   // 000000004C4C: BEFE0156
	s_mul_i32 s60, 4, s6                                       // 000000004C50: 923C0684
	s_cmp_lt_i32 2, s73                                        // 000000004C54: BF044982
	s_cselect_b32 s60, s60, 0                                  // 000000004C58: 853C803C
	v_add_u32_e32 v1, s60, v1                                  // 000000004C5C: 6802023C
	v_add_u32_e32 v2, s60, v2                                  // 000000004C60: 6804043C
	v_add_u32_e32 v3, s60, v3                                  // 000000004C64: 6806063C
	v_add_u32_e32 v4, s60, v4                                  // 000000004C68: 6808083C
	v_mov_b32_e32 v192, 0                                      // 000000004C6C: 7F800280
	s_mov_b64 exec, s[88:89]                                   // 000000004C70: BEFE0158
	buffer_load_dword v192, v1, s[12:15], 0 idxen              // 000000004C74: E0502000 8003C001
	s_mov_b64 exec, s[86:87]                                   // 000000004C7C: BEFE0156
	v_mov_b32_e32 v193, 0                                      // 000000004C80: 7F820280
	s_mov_b64 exec, s[88:89]                                   // 000000004C84: BEFE0158
	buffer_load_dword v193, v2, s[12:15], 0 idxen              // 000000004C88: E0502000 8003C102
	s_mov_b64 exec, s[86:87]                                   // 000000004C90: BEFE0156
	v_mov_b32_e32 v194, 0                                      // 000000004C94: 7F840280
	s_mov_b64 exec, s[88:89]                                   // 000000004C98: BEFE0158
	buffer_load_dword v194, v3, s[12:15], 0 idxen              // 000000004C9C: E0502000 8003C203
	s_mov_b64 exec, s[86:87]                                   // 000000004CA4: BEFE0156
	v_mov_b32_e32 v195, 0                                      // 000000004CA8: 7F860280
	s_mov_b64 exec, s[88:89]                                   // 000000004CAC: BEFE0158
	buffer_load_dword v195, v4, s[12:15], 0 idxen              // 000000004CB0: E0502000 8003C304
	s_mov_b64 exec, s[86:87]                                   // 000000004CB8: BEFE0156
	s_mul_i32 s60, 4, s6                                       // 000000004CBC: 923C0684
	s_cmp_lt_i32 2, s73                                        // 000000004CC0: BF044982
	s_cselect_b32 s60, s60, 0                                  // 000000004CC4: 853C803C
	v_add_u32_e32 v1, s60, v1                                  // 000000004CC8: 6802023C
	v_add_u32_e32 v2, s60, v2                                  // 000000004CCC: 6804043C
	v_add_u32_e32 v3, s60, v3                                  // 000000004CD0: 6806063C
	v_add_u32_e32 v4, s60, v4                                  // 000000004CD4: 6808083C
	v_mov_b32_e32 v196, 0                                      // 000000004CD8: 7F880280
	s_mov_b64 exec, s[88:89]                                   // 000000004CDC: BEFE0158
	buffer_load_dword v196, v1, s[12:15], 0 idxen              // 000000004CE0: E0502000 8003C401
	s_mov_b64 exec, s[86:87]                                   // 000000004CE8: BEFE0156
	v_mov_b32_e32 v197, 0                                      // 000000004CEC: 7F8A0280
	s_mov_b64 exec, s[88:89]                                   // 000000004CF0: BEFE0158
	buffer_load_dword v197, v2, s[12:15], 0 idxen              // 000000004CF4: E0502000 8003C502
	s_mov_b64 exec, s[86:87]                                   // 000000004CFC: BEFE0156
	v_mov_b32_e32 v198, 0                                      // 000000004D00: 7F8C0280
	s_mov_b64 exec, s[88:89]                                   // 000000004D04: BEFE0158
	buffer_load_dword v198, v3, s[12:15], 0 idxen              // 000000004D08: E0502000 8003C603
	s_mov_b64 exec, s[86:87]                                   // 000000004D10: BEFE0156
	v_mov_b32_e32 v199, 0                                      // 000000004D14: 7F8E0280
	s_mov_b64 exec, s[88:89]                                   // 000000004D18: BEFE0158
	buffer_load_dword v199, v4, s[12:15], 0 idxen              // 000000004D1C: E0502000 8003C704
	s_mov_b64 exec, s[86:87]                                   // 000000004D24: BEFE0156
	s_mul_i32 s60, 4, s6                                       // 000000004D28: 923C0684
	s_cmp_lt_i32 3, s73                                        // 000000004D2C: BF044983
	s_cselect_b32 s60, s60, 0                                  // 000000004D30: 853C803C
	v_add_u32_e32 v1, s60, v1                                  // 000000004D34: 6802023C
	v_add_u32_e32 v2, s60, v2                                  // 000000004D38: 6804043C
	v_add_u32_e32 v3, s60, v3                                  // 000000004D3C: 6806063C
	v_add_u32_e32 v4, s60, v4                                  // 000000004D40: 6808083C
	s_waitcnt vmcnt(32) lgkmcnt(0)                             // 000000004D44: BF8C8070
	s_barrier                                                  // 000000004D48: BF8A0000
	s_cmp_lt_i32 0, s73                                        // 000000004D4C: BF044980
	s_cbranch_scc1 label_03E5                                  // 000000004D50: BF850010
	v_mov_b32_e32 v152, 0                                      // 000000004D54: 7F300280
	v_mov_b32_e32 v153, 0                                      // 000000004D58: 7F320280
	v_mov_b32_e32 v154, 0                                      // 000000004D5C: 7F340280
	v_mov_b32_e32 v155, 0                                      // 000000004D60: 7F360280
	v_mov_b32_e32 v156, 0                                      // 000000004D64: 7F380280
	v_mov_b32_e32 v157, 0                                      // 000000004D68: 7F3A0280
	v_mov_b32_e32 v158, 0                                      // 000000004D6C: 7F3C0280
	v_mov_b32_e32 v159, 0                                      // 000000004D70: 7F3E0280
	v_mov_b32_e32 v160, 0                                      // 000000004D74: 7F400280
	v_mov_b32_e32 v161, 0                                      // 000000004D78: 7F420280
	v_mov_b32_e32 v162, 0                                      // 000000004D7C: 7F440280
	v_mov_b32_e32 v163, 0                                      // 000000004D80: 7F460280
	v_mov_b32_e32 v164, 0                                      // 000000004D84: 7F480280
	v_mov_b32_e32 v165, 0                                      // 000000004D88: 7F4A0280
	v_mov_b32_e32 v166, 0                                      // 000000004D8C: 7F4C0280
	v_mov_b32_e32 v167, 0                                      // 000000004D90: 7F4E0280

0000000000004d94 <label_03E5>:
	v_perm_b32 v200, v153, v152, s63                           // 000000004D94: D1ED00C8 00FF3199
	v_perm_b32 v201, v153, v152, s64                           // 000000004D9C: D1ED00C9 01033199
	v_perm_b32 v202, v155, v154, s63                           // 000000004DA4: D1ED00CA 00FF359B
	v_perm_b32 v203, v155, v154, s64                           // 000000004DAC: D1ED00CB 0103359B
	v_perm_b32 v204, v157, v156, s63                           // 000000004DB4: D1ED00CC 00FF399D
	v_perm_b32 v205, v157, v156, s64                           // 000000004DBC: D1ED00CD 0103399D
	v_perm_b32 v206, v159, v158, s63                           // 000000004DC4: D1ED00CE 00FF3D9F
	v_perm_b32 v207, v159, v158, s64                           // 000000004DCC: D1ED00CF 01033D9F
	v_perm_b32 v208, v161, v160, s63                           // 000000004DD4: D1ED00D0 00FF41A1
	v_perm_b32 v209, v161, v160, s64                           // 000000004DDC: D1ED00D1 010341A1
	v_perm_b32 v210, v163, v162, s63                           // 000000004DE4: D1ED00D2 00FF45A3
	v_perm_b32 v211, v163, v162, s64                           // 000000004DEC: D1ED00D3 010345A3
	v_perm_b32 v212, v165, v164, s63                           // 000000004DF4: D1ED00D4 00FF49A5
	v_perm_b32 v213, v165, v164, s64                           // 000000004DFC: D1ED00D5 010349A5
	v_perm_b32 v214, v167, v166, s63                           // 000000004E04: D1ED00D6 00FF4DA7
	v_perm_b32 v215, v167, v166, s64                           // 000000004E0C: D1ED00D7 01034DA7
	ds_write_b32 v13, v200 offset:17408                        // 000000004E14: D81A4400 0000C80D
	ds_write_b32 v13, v201 offset:18464                        // 000000004E1C: D81A4820 0000C90D
	ds_write_b32 v13, v202 offset:17536                        // 000000004E24: D81A4480 0000CA0D
	ds_write_b32 v13, v203 offset:18592                        // 000000004E2C: D81A48A0 0000CB0D
	ds_write_b32 v13, v204 offset:21760                        // 000000004E34: D81A5500 0000CC0D
	ds_write_b32 v13, v205 offset:22816                        // 000000004E3C: D81A5920 0000CD0D
	ds_write_b32 v13, v206 offset:21888                        // 000000004E44: D81A5580 0000CE0D
	ds_write_b32 v13, v207 offset:22944                        // 000000004E4C: D81A59A0 0000CF0D
	ds_write_b32 v13, v208 offset:26112                        // 000000004E54: D81A6600 0000D00D
	ds_write_b32 v13, v209 offset:27168                        // 000000004E5C: D81A6A20 0000D10D
	ds_write_b32 v13, v210 offset:26240                        // 000000004E64: D81A6680 0000D20D
	ds_write_b32 v13, v211 offset:27296                        // 000000004E6C: D81A6AA0 0000D30D
	ds_write_b32 v13, v212 offset:30464                        // 000000004E74: D81A7700 0000D40D
	ds_write_b32 v13, v213 offset:31520                        // 000000004E7C: D81A7B20 0000D50D
	ds_write_b32 v13, v214 offset:30592                        // 000000004E84: D81A7780 0000D60D
	ds_write_b32 v13, v215 offset:31648                        // 000000004E8C: D81A7BA0 0000D70D
	ds_write_b32 v11, v152                                     // 000000004E94: D81A0000 0000980B
	ds_write_b32 v11, v153 offset:1056                         // 000000004E9C: D81A0420 0000990B
	ds_write_b32 v11, v154 offset:128                          // 000000004EA4: D81A0080 00009A0B
	ds_write_b32 v11, v155 offset:1184                         // 000000004EAC: D81A04A0 00009B0B
	ds_write_b32 v11, v156 offset:4352                         // 000000004EB4: D81A1100 00009C0B
	ds_write_b32 v11, v157 offset:5408                         // 000000004EBC: D81A1520 00009D0B
	ds_write_b32 v11, v158 offset:4480                         // 000000004EC4: D81A1180 00009E0B
	ds_write_b32 v11, v159 offset:5536                         // 000000004ECC: D81A15A0 00009F0B
	ds_write_b32 v11, v160 offset:8704                         // 000000004ED4: D81A2200 0000A00B
	ds_write_b32 v11, v161 offset:9760                         // 000000004EDC: D81A2620 0000A10B
	ds_write_b32 v11, v162 offset:8832                         // 000000004EE4: D81A2280 0000A20B
	ds_write_b32 v11, v163 offset:9888                         // 000000004EEC: D81A26A0 0000A30B
	ds_write_b32 v11, v164 offset:13056                        // 000000004EF4: D81A3300 0000A40B
	ds_write_b32 v11, v165 offset:14112                        // 000000004EFC: D81A3720 0000A50B
	ds_write_b32 v11, v166 offset:13184                        // 000000004F04: D81A3380 0000A60B
	ds_write_b32 v11, v167 offset:14240                        // 000000004F0C: D81A37A0 0000A70B
	v_mov_b32_e32 v152, 0                                      // 000000004F14: 7F300280
	s_mov_b64 exec, s[88:89]                                   // 000000004F18: BEFE0158
	buffer_load_dword v152, v252, s[16:19], 0 idxen            // 000000004F1C: E0502000 800498FC
	s_mov_b64 exec, s[86:87]                                   // 000000004F24: BEFE0156
	v_mov_b32_e32 v153, 0                                      // 000000004F28: 7F320280
	s_mov_b64 exec, s[88:89]                                   // 000000004F2C: BEFE0158
	buffer_load_dword v153, v253, s[16:19], 0 idxen            // 000000004F30: E0502000 800499FD
	s_mov_b64 exec, s[86:87]                                   // 000000004F38: BEFE0156
	v_mov_b32_e32 v154, 0                                      // 000000004F3C: 7F340280
	s_mov_b64 exec, s[88:89]                                   // 000000004F40: BEFE0158
	buffer_load_dword v154, v254, s[16:19], 0 idxen            // 000000004F44: E0502000 80049AFE
	s_mov_b64 exec, s[86:87]                                   // 000000004F4C: BEFE0156
	v_mov_b32_e32 v155, 0                                      // 000000004F50: 7F360280
	s_mov_b64 exec, s[88:89]                                   // 000000004F54: BEFE0158
	buffer_load_dword v155, v255, s[16:19], 0 idxen            // 000000004F58: E0502000 80049BFF
	s_mov_b64 exec, s[86:87]                                   // 000000004F60: BEFE0156
	s_mul_i32 s60, 4, s7                                       // 000000004F64: 923C0784
	s_cmp_lt_i32 0, s73                                        // 000000004F68: BF044980
	s_cselect_b32 s60, s60, 0                                  // 000000004F6C: 853C803C
	v_add_u32_e32 v252, s60, v252                              // 000000004F70: 69F9F83C
	v_add_u32_e32 v253, s60, v253                              // 000000004F74: 69FBFA3C
	v_add_u32_e32 v254, s60, v254                              // 000000004F78: 69FDFC3C
	v_add_u32_e32 v255, s60, v255                              // 000000004F7C: 69FFFE3C
	v_mov_b32_e32 v156, 0                                      // 000000004F80: 7F380280
	s_mov_b64 exec, s[88:89]                                   // 000000004F84: BEFE0158
	buffer_load_dword v156, v252, s[16:19], 0 idxen            // 000000004F88: E0502000 80049CFC
	s_mov_b64 exec, s[86:87]                                   // 000000004F90: BEFE0156
	v_mov_b32_e32 v157, 0                                      // 000000004F94: 7F3A0280
	s_mov_b64 exec, s[88:89]                                   // 000000004F98: BEFE0158
	buffer_load_dword v157, v253, s[16:19], 0 idxen            // 000000004F9C: E0502000 80049DFD
	s_mov_b64 exec, s[86:87]                                   // 000000004FA4: BEFE0156
	v_mov_b32_e32 v158, 0                                      // 000000004FA8: 7F3C0280
	s_mov_b64 exec, s[88:89]                                   // 000000004FAC: BEFE0158
	buffer_load_dword v158, v254, s[16:19], 0 idxen            // 000000004FB0: E0502000 80049EFE
	s_mov_b64 exec, s[86:87]                                   // 000000004FB8: BEFE0156
	v_mov_b32_e32 v159, 0                                      // 000000004FBC: 7F3E0280
	s_mov_b64 exec, s[88:89]                                   // 000000004FC0: BEFE0158
	buffer_load_dword v159, v255, s[16:19], 0 idxen            // 000000004FC4: E0502000 80049FFF
	s_mov_b64 exec, s[86:87]                                   // 000000004FCC: BEFE0156
	s_mul_i32 s60, 4, s7                                       // 000000004FD0: 923C0784
	s_cmp_lt_i32 0, s73                                        // 000000004FD4: BF044980
	s_cselect_b32 s60, s60, 0                                  // 000000004FD8: 853C803C
	v_add_u32_e32 v252, s60, v252                              // 000000004FDC: 69F9F83C
	v_add_u32_e32 v253, s60, v253                              // 000000004FE0: 69FBFA3C
	v_add_u32_e32 v254, s60, v254                              // 000000004FE4: 69FDFC3C
	v_add_u32_e32 v255, s60, v255                              // 000000004FE8: 69FFFE3C
	v_mov_b32_e32 v160, 0                                      // 000000004FEC: 7F400280
	s_mov_b64 exec, s[88:89]                                   // 000000004FF0: BEFE0158
	buffer_load_dword v160, v252, s[16:19], 0 idxen            // 000000004FF4: E0502000 8004A0FC
	s_mov_b64 exec, s[86:87]                                   // 000000004FFC: BEFE0156
	v_mov_b32_e32 v161, 0                                      // 000000005000: 7F420280
	s_mov_b64 exec, s[88:89]                                   // 000000005004: BEFE0158
	buffer_load_dword v161, v253, s[16:19], 0 idxen            // 000000005008: E0502000 8004A1FD
	s_mov_b64 exec, s[86:87]                                   // 000000005010: BEFE0156
	v_mov_b32_e32 v162, 0                                      // 000000005014: 7F440280
	s_mov_b64 exec, s[88:89]                                   // 000000005018: BEFE0158
	buffer_load_dword v162, v254, s[16:19], 0 idxen            // 00000000501C: E0502000 8004A2FE
	s_mov_b64 exec, s[86:87]                                   // 000000005024: BEFE0156
	v_mov_b32_e32 v163, 0                                      // 000000005028: 7F460280
	s_mov_b64 exec, s[88:89]                                   // 00000000502C: BEFE0158
	buffer_load_dword v163, v255, s[16:19], 0 idxen            // 000000005030: E0502000 8004A3FF
	s_mov_b64 exec, s[86:87]                                   // 000000005038: BEFE0156
	s_mul_i32 s60, 4, s7                                       // 00000000503C: 923C0784
	s_cmp_lt_i32 0, s73                                        // 000000005040: BF044980
	s_cselect_b32 s60, s60, 0                                  // 000000005044: 853C803C
	v_add_u32_e32 v252, s60, v252                              // 000000005048: 69F9F83C
	v_add_u32_e32 v253, s60, v253                              // 00000000504C: 69FBFA3C
	v_add_u32_e32 v254, s60, v254                              // 000000005050: 69FDFC3C
	v_add_u32_e32 v255, s60, v255                              // 000000005054: 69FFFE3C
	v_mov_b32_e32 v164, 0                                      // 000000005058: 7F480280
	s_mov_b64 exec, s[88:89]                                   // 00000000505C: BEFE0158
	buffer_load_dword v164, v252, s[16:19], 0 idxen            // 000000005060: E0502000 8004A4FC
	s_mov_b64 exec, s[86:87]                                   // 000000005068: BEFE0156
	v_mov_b32_e32 v165, 0                                      // 00000000506C: 7F4A0280
	s_mov_b64 exec, s[88:89]                                   // 000000005070: BEFE0158
	buffer_load_dword v165, v253, s[16:19], 0 idxen            // 000000005074: E0502000 8004A5FD
	s_mov_b64 exec, s[86:87]                                   // 00000000507C: BEFE0156
	v_mov_b32_e32 v166, 0                                      // 000000005080: 7F4C0280
	s_mov_b64 exec, s[88:89]                                   // 000000005084: BEFE0158
	buffer_load_dword v166, v254, s[16:19], 0 idxen            // 000000005088: E0502000 8004A6FE
	s_mov_b64 exec, s[86:87]                                   // 000000005090: BEFE0156
	v_mov_b32_e32 v167, 0                                      // 000000005094: 7F4E0280
	s_mov_b64 exec, s[88:89]                                   // 000000005098: BEFE0158
	buffer_load_dword v167, v255, s[16:19], 0 idxen            // 00000000509C: E0502000 8004A7FF
	s_mov_b64 exec, s[86:87]                                   // 0000000050A4: BEFE0156
	s_mul_i32 s60, 4, s7                                       // 0000000050A8: 923C0784
	s_cmp_lt_i32 1, s73                                        // 0000000050AC: BF044981
	s_cselect_b32 s60, s60, 0                                  // 0000000050B0: 853C803C
	v_add_u32_e32 v252, s60, v252                              // 0000000050B4: 69F9F83C
	v_add_u32_e32 v253, s60, v253                              // 0000000050B8: 69FBFA3C
	v_add_u32_e32 v254, s60, v254                              // 0000000050BC: 69FDFC3C
	v_add_u32_e32 v255, s60, v255                              // 0000000050C0: 69FFFE3C
	s_waitcnt lgkmcnt(0)                                       // 0000000050C4: BF8CC07F
	s_barrier                                                  // 0000000050C8: BF8A0000
	ds_read_b128 a[48:51], v23 offset:17408                    // 0000000050CC: DBFE4400 30000017
	ds_read_b128 a[52:55], v23 offset:17664                    // 0000000050D4: DBFE4500 34000017
	ds_read_b128 a[56:59], v23 offset:26112                    // 0000000050DC: DBFE6600 38000017
	ds_read_b128 a[60:63], v23 offset:26368                    // 0000000050E4: DBFE6700 3C000017
	ds_read_b128 a[0:3], v22                                   // 0000000050EC: DBFE0000 00000016
	ds_read_b128 a[4:7], v22 offset:512                        // 0000000050F4: DBFE0200 04000016
	ds_read_b128 a[8:11], v22 offset:2176                      // 0000000050FC: DBFE0880 08000016
	ds_read_b128 a[12:15], v22 offset:2688                     // 000000005104: DBFE0A80 0C000016
	s_waitcnt vmcnt(32) lgkmcnt(0)                             // 00000000510C: BF8C8070
	s_barrier                                                  // 000000005110: BF8A0000
	s_cmp_lt_i32 1, s73                                        // 000000005114: BF044981
	s_cbranch_scc1 label_04D7                                  // 000000005118: BF850010
	v_mov_b32_e32 v168, 0                                      // 00000000511C: 7F500280
	v_mov_b32_e32 v169, 0                                      // 000000005120: 7F520280
	v_mov_b32_e32 v170, 0                                      // 000000005124: 7F540280
	v_mov_b32_e32 v171, 0                                      // 000000005128: 7F560280
	v_mov_b32_e32 v172, 0                                      // 00000000512C: 7F580280
	v_mov_b32_e32 v173, 0                                      // 000000005130: 7F5A0280
	v_mov_b32_e32 v174, 0                                      // 000000005134: 7F5C0280
	v_mov_b32_e32 v175, 0                                      // 000000005138: 7F5E0280
	v_mov_b32_e32 v176, 0                                      // 00000000513C: 7F600280
	v_mov_b32_e32 v177, 0                                      // 000000005140: 7F620280
	v_mov_b32_e32 v178, 0                                      // 000000005144: 7F640280
	v_mov_b32_e32 v179, 0                                      // 000000005148: 7F660280
	v_mov_b32_e32 v180, 0                                      // 00000000514C: 7F680280
	v_mov_b32_e32 v181, 0                                      // 000000005150: 7F6A0280
	v_mov_b32_e32 v182, 0                                      // 000000005154: 7F6C0280
	v_mov_b32_e32 v183, 0                                      // 000000005158: 7F6E0280

000000000000515c <label_04D7>:
	v_perm_b32 v200, v169, v168, s63                           // 00000000515C: D1ED00C8 00FF51A9
	v_perm_b32 v201, v169, v168, s64                           // 000000005164: D1ED00C9 010351A9
	v_perm_b32 v202, v171, v170, s63                           // 00000000516C: D1ED00CA 00FF55AB
	v_perm_b32 v203, v171, v170, s64                           // 000000005174: D1ED00CB 010355AB
	v_perm_b32 v204, v173, v172, s63                           // 00000000517C: D1ED00CC 00FF59AD
	v_perm_b32 v205, v173, v172, s64                           // 000000005184: D1ED00CD 010359AD
	v_perm_b32 v206, v175, v174, s63                           // 00000000518C: D1ED00CE 00FF5DAF
	v_perm_b32 v207, v175, v174, s64                           // 000000005194: D1ED00CF 01035DAF
	v_perm_b32 v208, v177, v176, s63                           // 00000000519C: D1ED00D0 00FF61B1
	v_perm_b32 v209, v177, v176, s64                           // 0000000051A4: D1ED00D1 010361B1
	v_perm_b32 v210, v179, v178, s63                           // 0000000051AC: D1ED00D2 00FF65B3
	v_perm_b32 v211, v179, v178, s64                           // 0000000051B4: D1ED00D3 010365B3
	v_perm_b32 v212, v181, v180, s63                           // 0000000051BC: D1ED00D4 00FF69B5
	v_perm_b32 v213, v181, v180, s64                           // 0000000051C4: D1ED00D5 010369B5
	v_perm_b32 v214, v183, v182, s63                           // 0000000051CC: D1ED00D6 00FF6DB7
	v_perm_b32 v215, v183, v182, s64                           // 0000000051D4: D1ED00D7 01036DB7
	ds_write_b32 v13, v200 offset:17408                        // 0000000051DC: D81A4400 0000C80D
	ds_write_b32 v13, v201 offset:18464                        // 0000000051E4: D81A4820 0000C90D
	ds_write_b32 v13, v202 offset:17536                        // 0000000051EC: D81A4480 0000CA0D
	ds_write_b32 v13, v203 offset:18592                        // 0000000051F4: D81A48A0 0000CB0D
	ds_write_b32 v13, v204 offset:21760                        // 0000000051FC: D81A5500 0000CC0D
	ds_write_b32 v13, v205 offset:22816                        // 000000005204: D81A5920 0000CD0D
	ds_write_b32 v13, v206 offset:21888                        // 00000000520C: D81A5580 0000CE0D
	ds_write_b32 v13, v207 offset:22944                        // 000000005214: D81A59A0 0000CF0D
	ds_write_b32 v13, v208 offset:26112                        // 00000000521C: D81A6600 0000D00D
	ds_write_b32 v13, v209 offset:27168                        // 000000005224: D81A6A20 0000D10D
	ds_write_b32 v13, v210 offset:26240                        // 00000000522C: D81A6680 0000D20D
	ds_write_b32 v13, v211 offset:27296                        // 000000005234: D81A6AA0 0000D30D
	ds_write_b32 v13, v212 offset:30464                        // 00000000523C: D81A7700 0000D40D
	ds_write_b32 v13, v213 offset:31520                        // 000000005244: D81A7B20 0000D50D
	ds_write_b32 v13, v214 offset:30592                        // 00000000524C: D81A7780 0000D60D
	ds_write_b32 v13, v215 offset:31648                        // 000000005254: D81A7BA0 0000D70D
	ds_write_b32 v11, v168                                     // 00000000525C: D81A0000 0000A80B
	ds_write_b32 v11, v169 offset:1056                         // 000000005264: D81A0420 0000A90B
	ds_write_b32 v11, v170 offset:128                          // 00000000526C: D81A0080 0000AA0B
	ds_write_b32 v11, v171 offset:1184                         // 000000005274: D81A04A0 0000AB0B
	ds_write_b32 v11, v172 offset:4352                         // 00000000527C: D81A1100 0000AC0B
	ds_write_b32 v11, v173 offset:5408                         // 000000005284: D81A1520 0000AD0B
	ds_write_b32 v11, v174 offset:4480                         // 00000000528C: D81A1180 0000AE0B
	ds_write_b32 v11, v175 offset:5536                         // 000000005294: D81A15A0 0000AF0B
	ds_write_b32 v11, v176 offset:8704                         // 00000000529C: D81A2200 0000B00B
	ds_write_b32 v11, v177 offset:9760                         // 0000000052A4: D81A2620 0000B10B
	ds_write_b32 v11, v178 offset:8832                         // 0000000052AC: D81A2280 0000B20B
	ds_write_b32 v11, v179 offset:9888                         // 0000000052B4: D81A26A0 0000B30B
	ds_write_b32 v11, v180 offset:13056                        // 0000000052BC: D81A3300 0000B40B
	ds_write_b32 v11, v181 offset:14112                        // 0000000052C4: D81A3720 0000B50B
	ds_write_b32 v11, v182 offset:13184                        // 0000000052CC: D81A3380 0000B60B
	ds_write_b32 v11, v183 offset:14240                        // 0000000052D4: D81A37A0 0000B70B
	v_mov_b32_e32 v168, 0                                      // 0000000052DC: 7F500280
	s_mov_b64 exec, s[88:89]                                   // 0000000052E0: BEFE0158
	buffer_load_dword v168, v252, s[16:19], 0 idxen            // 0000000052E4: E0502000 8004A8FC
	s_mov_b64 exec, s[86:87]                                   // 0000000052EC: BEFE0156
	v_mov_b32_e32 v169, 0                                      // 0000000052F0: 7F520280
	s_mov_b64 exec, s[88:89]                                   // 0000000052F4: BEFE0158
	buffer_load_dword v169, v253, s[16:19], 0 idxen            // 0000000052F8: E0502000 8004A9FD
	s_mov_b64 exec, s[86:87]                                   // 000000005300: BEFE0156
	v_mov_b32_e32 v170, 0                                      // 000000005304: 7F540280
	s_mov_b64 exec, s[88:89]                                   // 000000005308: BEFE0158
	buffer_load_dword v170, v254, s[16:19], 0 idxen            // 00000000530C: E0502000 8004AAFE
	s_mov_b64 exec, s[86:87]                                   // 000000005314: BEFE0156
	v_mov_b32_e32 v171, 0                                      // 000000005318: 7F560280
	s_mov_b64 exec, s[88:89]                                   // 00000000531C: BEFE0158
	buffer_load_dword v171, v255, s[16:19], 0 idxen            // 000000005320: E0502000 8004ABFF
	s_mov_b64 exec, s[86:87]                                   // 000000005328: BEFE0156
	s_mul_i32 s60, 4, s7                                       // 00000000532C: 923C0784
	s_cmp_lt_i32 1, s73                                        // 000000005330: BF044981
	s_cselect_b32 s60, s60, 0                                  // 000000005334: 853C803C
	v_add_u32_e32 v252, s60, v252                              // 000000005338: 69F9F83C
	v_add_u32_e32 v253, s60, v253                              // 00000000533C: 69FBFA3C
	v_add_u32_e32 v254, s60, v254                              // 000000005340: 69FDFC3C
	v_add_u32_e32 v255, s60, v255                              // 000000005344: 69FFFE3C
	v_mov_b32_e32 v172, 0                                      // 000000005348: 7F580280
	s_mov_b64 exec, s[88:89]                                   // 00000000534C: BEFE0158
	buffer_load_dword v172, v252, s[16:19], 0 idxen            // 000000005350: E0502000 8004ACFC
	s_mov_b64 exec, s[86:87]                                   // 000000005358: BEFE0156
	v_mov_b32_e32 v173, 0                                      // 00000000535C: 7F5A0280
	s_mov_b64 exec, s[88:89]                                   // 000000005360: BEFE0158
	buffer_load_dword v173, v253, s[16:19], 0 idxen            // 000000005364: E0502000 8004ADFD
	s_mov_b64 exec, s[86:87]                                   // 00000000536C: BEFE0156
	v_mov_b32_e32 v174, 0                                      // 000000005370: 7F5C0280
	s_mov_b64 exec, s[88:89]                                   // 000000005374: BEFE0158
	buffer_load_dword v174, v254, s[16:19], 0 idxen            // 000000005378: E0502000 8004AEFE
	s_mov_b64 exec, s[86:87]                                   // 000000005380: BEFE0156
	v_mov_b32_e32 v175, 0                                      // 000000005384: 7F5E0280
	s_mov_b64 exec, s[88:89]                                   // 000000005388: BEFE0158
	buffer_load_dword v175, v255, s[16:19], 0 idxen            // 00000000538C: E0502000 8004AFFF
	s_mov_b64 exec, s[86:87]                                   // 000000005394: BEFE0156
	s_mul_i32 s60, 4, s7                                       // 000000005398: 923C0784
	s_cmp_lt_i32 1, s73                                        // 00000000539C: BF044981
	s_cselect_b32 s60, s60, 0                                  // 0000000053A0: 853C803C
	v_add_u32_e32 v252, s60, v252                              // 0000000053A4: 69F9F83C
	v_add_u32_e32 v253, s60, v253                              // 0000000053A8: 69FBFA3C
	v_add_u32_e32 v254, s60, v254                              // 0000000053AC: 69FDFC3C
	v_add_u32_e32 v255, s60, v255                              // 0000000053B0: 69FFFE3C
	v_mov_b32_e32 v176, 0                                      // 0000000053B4: 7F600280
	s_mov_b64 exec, s[88:89]                                   // 0000000053B8: BEFE0158
	buffer_load_dword v176, v252, s[16:19], 0 idxen            // 0000000053BC: E0502000 8004B0FC
	s_mov_b64 exec, s[86:87]                                   // 0000000053C4: BEFE0156
	v_mov_b32_e32 v177, 0                                      // 0000000053C8: 7F620280
	s_mov_b64 exec, s[88:89]                                   // 0000000053CC: BEFE0158
	buffer_load_dword v177, v253, s[16:19], 0 idxen            // 0000000053D0: E0502000 8004B1FD
	s_mov_b64 exec, s[86:87]                                   // 0000000053D8: BEFE0156
	v_mov_b32_e32 v178, 0                                      // 0000000053DC: 7F640280
	s_mov_b64 exec, s[88:89]                                   // 0000000053E0: BEFE0158
	buffer_load_dword v178, v254, s[16:19], 0 idxen            // 0000000053E4: E0502000 8004B2FE
	s_mov_b64 exec, s[86:87]                                   // 0000000053EC: BEFE0156
	v_mov_b32_e32 v179, 0                                      // 0000000053F0: 7F660280
	s_mov_b64 exec, s[88:89]                                   // 0000000053F4: BEFE0158
	buffer_load_dword v179, v255, s[16:19], 0 idxen            // 0000000053F8: E0502000 8004B3FF
	s_mov_b64 exec, s[86:87]                                   // 000000005400: BEFE0156
	s_mul_i32 s60, 4, s7                                       // 000000005404: 923C0784
	s_cmp_lt_i32 1, s73                                        // 000000005408: BF044981
	s_cselect_b32 s60, s60, 0                                  // 00000000540C: 853C803C
	v_add_u32_e32 v252, s60, v252                              // 000000005410: 69F9F83C
	v_add_u32_e32 v253, s60, v253                              // 000000005414: 69FBFA3C
	v_add_u32_e32 v254, s60, v254                              // 000000005418: 69FDFC3C
	v_add_u32_e32 v255, s60, v255                              // 00000000541C: 69FFFE3C
	v_mov_b32_e32 v180, 0                                      // 000000005420: 7F680280
	s_mov_b64 exec, s[88:89]                                   // 000000005424: BEFE0158
	buffer_load_dword v180, v252, s[16:19], 0 idxen            // 000000005428: E0502000 8004B4FC
	s_mov_b64 exec, s[86:87]                                   // 000000005430: BEFE0156
	v_mov_b32_e32 v181, 0                                      // 000000005434: 7F6A0280
	s_mov_b64 exec, s[88:89]                                   // 000000005438: BEFE0158
	buffer_load_dword v181, v253, s[16:19], 0 idxen            // 00000000543C: E0502000 8004B5FD
	s_mov_b64 exec, s[86:87]                                   // 000000005444: BEFE0156
	v_mov_b32_e32 v182, 0                                      // 000000005448: 7F6C0280
	s_mov_b64 exec, s[88:89]                                   // 00000000544C: BEFE0158
	buffer_load_dword v182, v254, s[16:19], 0 idxen            // 000000005450: E0502000 8004B6FE
	s_mov_b64 exec, s[86:87]                                   // 000000005458: BEFE0156
	v_mov_b32_e32 v183, 0                                      // 00000000545C: 7F6E0280
	s_mov_b64 exec, s[88:89]                                   // 000000005460: BEFE0158
	buffer_load_dword v183, v255, s[16:19], 0 idxen            // 000000005464: E0502000 8004B7FF
	s_mov_b64 exec, s[86:87]                                   // 00000000546C: BEFE0156
	s_mul_i32 s60, 4, s7                                       // 000000005470: 923C0784
	s_cmp_lt_i32 2, s73                                        // 000000005474: BF044982
	s_cselect_b32 s60, s60, 0                                  // 000000005478: 853C803C
	v_add_u32_e32 v252, s60, v252                              // 00000000547C: 69F9F83C
	v_add_u32_e32 v253, s60, v253                              // 000000005480: 69FBFA3C
	v_add_u32_e32 v254, s60, v254                              // 000000005484: 69FDFC3C
	v_add_u32_e32 v255, s60, v255                              // 000000005488: 69FFFE3C
	s_waitcnt lgkmcnt(0)                                       // 00000000548C: BF8CC07F
	s_barrier                                                  // 000000005490: BF8A0000
	ds_read_b128 a[64:67], v23 offset:17408                    // 000000005494: DBFE4400 40000017
	ds_read_b128 a[68:71], v23 offset:17664                    // 00000000549C: DBFE4500 44000017
	ds_read_b128 a[72:75], v23 offset:26112                    // 0000000054A4: DBFE6600 48000017
	ds_read_b128 a[76:79], v23 offset:26368                    // 0000000054AC: DBFE6700 4C000017
	ds_read_b128 a[16:19], v22                                 // 0000000054B4: DBFE0000 10000016
	ds_read_b128 a[20:23], v22 offset:512                      // 0000000054BC: DBFE0200 14000016
	ds_read_b128 a[24:27], v22 offset:2176                     // 0000000054C4: DBFE0880 18000016
	ds_read_b128 a[28:31], v22 offset:2688                     // 0000000054CC: DBFE0A80 1C000016
	s_waitcnt vmcnt(32) lgkmcnt(0)                             // 0000000054D4: BF8C8070
	s_barrier                                                  // 0000000054D8: BF8A0000
	s_cmp_lt_i32 2, s73                                        // 0000000054DC: BF044982
	s_cbranch_scc1 label_05C9                                  // 0000000054E0: BF850010
	v_mov_b32_e32 v184, 0                                      // 0000000054E4: 7F700280
	v_mov_b32_e32 v185, 0                                      // 0000000054E8: 7F720280
	v_mov_b32_e32 v186, 0                                      // 0000000054EC: 7F740280
	v_mov_b32_e32 v187, 0                                      // 0000000054F0: 7F760280
	v_mov_b32_e32 v188, 0                                      // 0000000054F4: 7F780280
	v_mov_b32_e32 v189, 0                                      // 0000000054F8: 7F7A0280
	v_mov_b32_e32 v190, 0                                      // 0000000054FC: 7F7C0280
	v_mov_b32_e32 v191, 0                                      // 000000005500: 7F7E0280
	v_mov_b32_e32 v192, 0                                      // 000000005504: 7F800280
	v_mov_b32_e32 v193, 0                                      // 000000005508: 7F820280
	v_mov_b32_e32 v194, 0                                      // 00000000550C: 7F840280
	v_mov_b32_e32 v195, 0                                      // 000000005510: 7F860280
	v_mov_b32_e32 v196, 0                                      // 000000005514: 7F880280
	v_mov_b32_e32 v197, 0                                      // 000000005518: 7F8A0280
	v_mov_b32_e32 v198, 0                                      // 00000000551C: 7F8C0280
	v_mov_b32_e32 v199, 0                                      // 000000005520: 7F8E0280

0000000000005524 <label_05C9>:
	v_perm_b32 v200, v185, v184, s63                           // 000000005524: D1ED00C8 00FF71B9
	v_perm_b32 v201, v185, v184, s64                           // 00000000552C: D1ED00C9 010371B9
	v_perm_b32 v202, v187, v186, s63                           // 000000005534: D1ED00CA 00FF75BB
	v_perm_b32 v203, v187, v186, s64                           // 00000000553C: D1ED00CB 010375BB
	v_perm_b32 v204, v189, v188, s63                           // 000000005544: D1ED00CC 00FF79BD
	v_perm_b32 v205, v189, v188, s64                           // 00000000554C: D1ED00CD 010379BD
	v_perm_b32 v206, v191, v190, s63                           // 000000005554: D1ED00CE 00FF7DBF
	v_perm_b32 v207, v191, v190, s64                           // 00000000555C: D1ED00CF 01037DBF
	v_perm_b32 v208, v193, v192, s63                           // 000000005564: D1ED00D0 00FF81C1
	v_perm_b32 v209, v193, v192, s64                           // 00000000556C: D1ED00D1 010381C1
	v_perm_b32 v210, v195, v194, s63                           // 000000005574: D1ED00D2 00FF85C3
	v_perm_b32 v211, v195, v194, s64                           // 00000000557C: D1ED00D3 010385C3
	v_perm_b32 v212, v197, v196, s63                           // 000000005584: D1ED00D4 00FF89C5
	v_perm_b32 v213, v197, v196, s64                           // 00000000558C: D1ED00D5 010389C5
	v_perm_b32 v214, v199, v198, s63                           // 000000005594: D1ED00D6 00FF8DC7
	v_perm_b32 v215, v199, v198, s64                           // 00000000559C: D1ED00D7 01038DC7
	ds_write_b32 v13, v200 offset:17408                        // 0000000055A4: D81A4400 0000C80D
	ds_write_b32 v13, v201 offset:18464                        // 0000000055AC: D81A4820 0000C90D
	ds_write_b32 v13, v202 offset:17536                        // 0000000055B4: D81A4480 0000CA0D
	ds_write_b32 v13, v203 offset:18592                        // 0000000055BC: D81A48A0 0000CB0D
	ds_write_b32 v13, v204 offset:21760                        // 0000000055C4: D81A5500 0000CC0D
	ds_write_b32 v13, v205 offset:22816                        // 0000000055CC: D81A5920 0000CD0D
	ds_write_b32 v13, v206 offset:21888                        // 0000000055D4: D81A5580 0000CE0D
	ds_write_b32 v13, v207 offset:22944                        // 0000000055DC: D81A59A0 0000CF0D
	ds_write_b32 v13, v208 offset:26112                        // 0000000055E4: D81A6600 0000D00D
	ds_write_b32 v13, v209 offset:27168                        // 0000000055EC: D81A6A20 0000D10D
	ds_write_b32 v13, v210 offset:26240                        // 0000000055F4: D81A6680 0000D20D
	ds_write_b32 v13, v211 offset:27296                        // 0000000055FC: D81A6AA0 0000D30D
	ds_write_b32 v13, v212 offset:30464                        // 000000005604: D81A7700 0000D40D
	ds_write_b32 v13, v213 offset:31520                        // 00000000560C: D81A7B20 0000D50D
	ds_write_b32 v13, v214 offset:30592                        // 000000005614: D81A7780 0000D60D
	ds_write_b32 v13, v215 offset:31648                        // 00000000561C: D81A7BA0 0000D70D
	ds_write_b32 v11, v184                                     // 000000005624: D81A0000 0000B80B
	ds_write_b32 v11, v185 offset:1056                         // 00000000562C: D81A0420 0000B90B
	ds_write_b32 v11, v186 offset:128                          // 000000005634: D81A0080 0000BA0B
	ds_write_b32 v11, v187 offset:1184                         // 00000000563C: D81A04A0 0000BB0B
	ds_write_b32 v11, v188 offset:4352                         // 000000005644: D81A1100 0000BC0B
	ds_write_b32 v11, v189 offset:5408                         // 00000000564C: D81A1520 0000BD0B
	ds_write_b32 v11, v190 offset:4480                         // 000000005654: D81A1180 0000BE0B
	ds_write_b32 v11, v191 offset:5536                         // 00000000565C: D81A15A0 0000BF0B
	ds_write_b32 v11, v192 offset:8704                         // 000000005664: D81A2200 0000C00B
	ds_write_b32 v11, v193 offset:9760                         // 00000000566C: D81A2620 0000C10B
	ds_write_b32 v11, v194 offset:8832                         // 000000005674: D81A2280 0000C20B
	ds_write_b32 v11, v195 offset:9888                         // 00000000567C: D81A26A0 0000C30B
	ds_write_b32 v11, v196 offset:13056                        // 000000005684: D81A3300 0000C40B
	ds_write_b32 v11, v197 offset:14112                        // 00000000568C: D81A3720 0000C50B
	ds_write_b32 v11, v198 offset:13184                        // 000000005694: D81A3380 0000C60B
	ds_write_b32 v11, v199 offset:14240                        // 00000000569C: D81A37A0 0000C70B
	v_mov_b32_e32 v184, 0                                      // 0000000056A4: 7F700280
	s_mov_b64 exec, s[88:89]                                   // 0000000056A8: BEFE0158
	buffer_load_dword v184, v252, s[16:19], 0 idxen            // 0000000056AC: E0502000 8004B8FC
	s_mov_b64 exec, s[86:87]                                   // 0000000056B4: BEFE0156
	v_mov_b32_e32 v185, 0                                      // 0000000056B8: 7F720280
	s_mov_b64 exec, s[88:89]                                   // 0000000056BC: BEFE0158
	buffer_load_dword v185, v253, s[16:19], 0 idxen            // 0000000056C0: E0502000 8004B9FD
	s_mov_b64 exec, s[86:87]                                   // 0000000056C8: BEFE0156
	v_mov_b32_e32 v186, 0                                      // 0000000056CC: 7F740280
	s_mov_b64 exec, s[88:89]                                   // 0000000056D0: BEFE0158
	buffer_load_dword v186, v254, s[16:19], 0 idxen            // 0000000056D4: E0502000 8004BAFE
	s_mov_b64 exec, s[86:87]                                   // 0000000056DC: BEFE0156
	v_mov_b32_e32 v187, 0                                      // 0000000056E0: 7F760280
	s_mov_b64 exec, s[88:89]                                   // 0000000056E4: BEFE0158
	buffer_load_dword v187, v255, s[16:19], 0 idxen            // 0000000056E8: E0502000 8004BBFF
	s_mov_b64 exec, s[86:87]                                   // 0000000056F0: BEFE0156
	s_mul_i32 s60, 4, s7                                       // 0000000056F4: 923C0784
	s_cmp_lt_i32 2, s73                                        // 0000000056F8: BF044982
	s_cselect_b32 s60, s60, 0                                  // 0000000056FC: 853C803C
	v_add_u32_e32 v252, s60, v252                              // 000000005700: 69F9F83C
	v_add_u32_e32 v253, s60, v253                              // 000000005704: 69FBFA3C
	v_add_u32_e32 v254, s60, v254                              // 000000005708: 69FDFC3C
	v_add_u32_e32 v255, s60, v255                              // 00000000570C: 69FFFE3C
	v_mov_b32_e32 v188, 0                                      // 000000005710: 7F780280
	s_mov_b64 exec, s[88:89]                                   // 000000005714: BEFE0158
	buffer_load_dword v188, v252, s[16:19], 0 idxen            // 000000005718: E0502000 8004BCFC
	s_mov_b64 exec, s[86:87]                                   // 000000005720: BEFE0156
	v_mov_b32_e32 v189, 0                                      // 000000005724: 7F7A0280
	s_mov_b64 exec, s[88:89]                                   // 000000005728: BEFE0158
	buffer_load_dword v189, v253, s[16:19], 0 idxen            // 00000000572C: E0502000 8004BDFD
	s_mov_b64 exec, s[86:87]                                   // 000000005734: BEFE0156
	v_mov_b32_e32 v190, 0                                      // 000000005738: 7F7C0280
	s_mov_b64 exec, s[88:89]                                   // 00000000573C: BEFE0158
	buffer_load_dword v190, v254, s[16:19], 0 idxen            // 000000005740: E0502000 8004BEFE
	s_mov_b64 exec, s[86:87]                                   // 000000005748: BEFE0156
	v_mov_b32_e32 v191, 0                                      // 00000000574C: 7F7E0280
	s_mov_b64 exec, s[88:89]                                   // 000000005750: BEFE0158
	buffer_load_dword v191, v255, s[16:19], 0 idxen            // 000000005754: E0502000 8004BFFF
	s_mov_b64 exec, s[86:87]                                   // 00000000575C: BEFE0156
	s_mul_i32 s60, 4, s7                                       // 000000005760: 923C0784
	s_cmp_lt_i32 2, s73                                        // 000000005764: BF044982
	s_cselect_b32 s60, s60, 0                                  // 000000005768: 853C803C
	v_add_u32_e32 v252, s60, v252                              // 00000000576C: 69F9F83C
	v_add_u32_e32 v253, s60, v253                              // 000000005770: 69FBFA3C
	v_add_u32_e32 v254, s60, v254                              // 000000005774: 69FDFC3C
	v_add_u32_e32 v255, s60, v255                              // 000000005778: 69FFFE3C
	v_mov_b32_e32 v192, 0                                      // 00000000577C: 7F800280
	s_mov_b64 exec, s[88:89]                                   // 000000005780: BEFE0158
	buffer_load_dword v192, v252, s[16:19], 0 idxen            // 000000005784: E0502000 8004C0FC
	s_mov_b64 exec, s[86:87]                                   // 00000000578C: BEFE0156
	v_mov_b32_e32 v193, 0                                      // 000000005790: 7F820280
	s_mov_b64 exec, s[88:89]                                   // 000000005794: BEFE0158
	buffer_load_dword v193, v253, s[16:19], 0 idxen            // 000000005798: E0502000 8004C1FD
	s_mov_b64 exec, s[86:87]                                   // 0000000057A0: BEFE0156
	v_mov_b32_e32 v194, 0                                      // 0000000057A4: 7F840280
	s_mov_b64 exec, s[88:89]                                   // 0000000057A8: BEFE0158
	buffer_load_dword v194, v254, s[16:19], 0 idxen            // 0000000057AC: E0502000 8004C2FE
	s_mov_b64 exec, s[86:87]                                   // 0000000057B4: BEFE0156
	v_mov_b32_e32 v195, 0                                      // 0000000057B8: 7F860280
	s_mov_b64 exec, s[88:89]                                   // 0000000057BC: BEFE0158
	buffer_load_dword v195, v255, s[16:19], 0 idxen            // 0000000057C0: E0502000 8004C3FF
	s_mov_b64 exec, s[86:87]                                   // 0000000057C8: BEFE0156
	s_mul_i32 s60, 4, s7                                       // 0000000057CC: 923C0784
	s_cmp_lt_i32 2, s73                                        // 0000000057D0: BF044982
	s_cselect_b32 s60, s60, 0                                  // 0000000057D4: 853C803C
	v_add_u32_e32 v252, s60, v252                              // 0000000057D8: 69F9F83C
	v_add_u32_e32 v253, s60, v253                              // 0000000057DC: 69FBFA3C
	v_add_u32_e32 v254, s60, v254                              // 0000000057E0: 69FDFC3C
	v_add_u32_e32 v255, s60, v255                              // 0000000057E4: 69FFFE3C
	v_mov_b32_e32 v196, 0                                      // 0000000057E8: 7F880280
	s_mov_b64 exec, s[88:89]                                   // 0000000057EC: BEFE0158
	buffer_load_dword v196, v252, s[16:19], 0 idxen            // 0000000057F0: E0502000 8004C4FC
	s_mov_b64 exec, s[86:87]                                   // 0000000057F8: BEFE0156
	v_mov_b32_e32 v197, 0                                      // 0000000057FC: 7F8A0280
	s_mov_b64 exec, s[88:89]                                   // 000000005800: BEFE0158
	buffer_load_dword v197, v253, s[16:19], 0 idxen            // 000000005804: E0502000 8004C5FD
	s_mov_b64 exec, s[86:87]                                   // 00000000580C: BEFE0156
	v_mov_b32_e32 v198, 0                                      // 000000005810: 7F8C0280
	s_mov_b64 exec, s[88:89]                                   // 000000005814: BEFE0158
	buffer_load_dword v198, v254, s[16:19], 0 idxen            // 000000005818: E0502000 8004C6FE
	s_mov_b64 exec, s[86:87]                                   // 000000005820: BEFE0156
	v_mov_b32_e32 v199, 0                                      // 000000005824: 7F8E0280
	s_mov_b64 exec, s[88:89]                                   // 000000005828: BEFE0158
	buffer_load_dword v199, v255, s[16:19], 0 idxen            // 00000000582C: E0502000 8004C7FF
	s_mov_b64 exec, s[86:87]                                   // 000000005834: BEFE0156
	s_mul_i32 s60, 4, s7                                       // 000000005838: 923C0784
	s_cmp_lt_i32 3, s73                                        // 00000000583C: BF044983
	s_cselect_b32 s60, s60, 0                                  // 000000005840: 853C803C
	v_add_u32_e32 v252, s60, v252                              // 000000005844: 69F9F83C
	v_add_u32_e32 v253, s60, v253                              // 000000005848: 69FBFA3C
	v_add_u32_e32 v254, s60, v254                              // 00000000584C: 69FDFC3C
	v_add_u32_e32 v255, s60, v255                              // 000000005850: 69FFFE3C
	s_waitcnt lgkmcnt(0)                                       // 000000005854: BF8CC07F
	s_barrier                                                  // 000000005858: BF8A0000
	ds_read_b128 a[80:83], v23 offset:17408                    // 00000000585C: DBFE4400 50000017
	ds_read_b128 a[84:87], v23 offset:17664                    // 000000005864: DBFE4500 54000017
	ds_read_b128 a[88:91], v23 offset:26112                    // 00000000586C: DBFE6600 58000017
	ds_read_b128 a[92:95], v23 offset:26368                    // 000000005874: DBFE6700 5C000017
	ds_read_b128 a[32:35], v22                                 // 00000000587C: DBFE0000 20000016
	ds_read_b128 a[36:39], v22 offset:512                      // 000000005884: DBFE0200 24000016
	ds_read_b128 a[40:43], v22 offset:2176                     // 00000000588C: DBFE0880 28000016
	ds_read_b128 a[44:47], v22 offset:2688                     // 000000005894: DBFE0A80 2C000016
	s_waitcnt vmcnt(32) lgkmcnt(0)                             // 00000000589C: BF8C8070
	s_barrier                                                  // 0000000058A0: BF8A0000
	s_cmp_lt_i32 0, s73                                        // 0000000058A4: BF044980
	s_cbranch_scc1 label_06BB                                  // 0000000058A8: BF850010
	v_mov_b32_e32 v152, 0                                      // 0000000058AC: 7F300280
	v_mov_b32_e32 v153, 0                                      // 0000000058B0: 7F320280
	v_mov_b32_e32 v154, 0                                      // 0000000058B4: 7F340280
	v_mov_b32_e32 v155, 0                                      // 0000000058B8: 7F360280
	v_mov_b32_e32 v156, 0                                      // 0000000058BC: 7F380280
	v_mov_b32_e32 v157, 0                                      // 0000000058C0: 7F3A0280
	v_mov_b32_e32 v158, 0                                      // 0000000058C4: 7F3C0280
	v_mov_b32_e32 v159, 0                                      // 0000000058C8: 7F3E0280
	v_mov_b32_e32 v160, 0                                      // 0000000058CC: 7F400280
	v_mov_b32_e32 v161, 0                                      // 0000000058D0: 7F420280
	v_mov_b32_e32 v162, 0                                      // 0000000058D4: 7F440280
	v_mov_b32_e32 v163, 0                                      // 0000000058D8: 7F460280
	v_mov_b32_e32 v164, 0                                      // 0000000058DC: 7F480280
	v_mov_b32_e32 v165, 0                                      // 0000000058E0: 7F4A0280
	v_mov_b32_e32 v166, 0                                      // 0000000058E4: 7F4C0280
	v_mov_b32_e32 v167, 0                                      // 0000000058E8: 7F4E0280

00000000000058ec <label_06BB>:
	ds_write_b32 v11, v152                                     // 0000000058EC: D81A0000 0000980B
	ds_write_b32 v11, v153 offset:1056                         // 0000000058F4: D81A0420 0000990B
	ds_write_b32 v11, v154 offset:128                          // 0000000058FC: D81A0080 00009A0B
	ds_write_b32 v11, v155 offset:1184                         // 000000005904: D81A04A0 00009B0B
	ds_write_b32 v11, v156 offset:4352                         // 00000000590C: D81A1100 00009C0B
	ds_write_b32 v11, v157 offset:5408                         // 000000005914: D81A1520 00009D0B
	ds_write_b32 v11, v158 offset:4480                         // 00000000591C: D81A1180 00009E0B
	ds_write_b32 v11, v159 offset:5536                         // 000000005924: D81A15A0 00009F0B
	ds_write_b32 v11, v160 offset:8704                         // 00000000592C: D81A2200 0000A00B
	ds_write_b32 v11, v161 offset:9760                         // 000000005934: D81A2620 0000A10B
	ds_write_b32 v11, v162 offset:8832                         // 00000000593C: D81A2280 0000A20B
	ds_write_b32 v11, v163 offset:9888                         // 000000005944: D81A26A0 0000A30B
	ds_write_b32 v11, v164 offset:13056                        // 00000000594C: D81A3300 0000A40B
	ds_write_b32 v11, v165 offset:14112                        // 000000005954: D81A3720 0000A50B
	ds_write_b32 v11, v166 offset:13184                        // 00000000595C: D81A3380 0000A60B
	ds_write_b32 v11, v167 offset:14240                        // 000000005964: D81A37A0 0000A70B
	s_mov_b32 s71, s5                                          // 00000000596C: BEC70005
	v_lshrrev_b32_e32 v28, 4, v0                               // 000000005970: 20380084
	v_and_b32_e32 v29, 1, v28                                  // 000000005974: 263A3881
	v_lshlrev_b32_e32 v29, 1, v29                              // 000000005978: 243A3A81
	v_mul_i32_i24_e32 v29, s71, v29                            // 00000000597C: 0C3A3A47
	v_and_b32_e32 v30, 2, v28                                  // 000000005980: 263C3882
	v_lshlrev_b32_e32 v30, 5, v30                              // 000000005984: 243C3C85
	v_add_u32_e32 v29, v30, v29                                // 000000005988: 683A3B1E
	v_and_b32_e32 v28, 15, v0                                  // 00000000598C: 2638008F
	v_lshlrev_b32_e32 v28, 2, v28                              // 000000005990: 24383882
	v_add_u32_e32 v1, v28, v29                                 // 000000005994: 68023B1C
	s_and_b32 s60, 1, s46                                      // 000000005998: 863C2E81
	s_mul_i32 s60, s60, s71                                    // 00000000599C: 923C473C
	s_mul_i32 s60, s60, 8                                      // 0000000059A0: 923C883C
	s_lshr_b32 s61, s46, 1                                     // 0000000059A4: 8F3D812E
	s_mul_i32 s61, s61, 0x80                                   // 0000000059A8: 923DFF3D 00000080
	s_add_u32 s60, s60, s61                                    // 0000000059B0: 803C3D3C
	v_add_u32_e32 v1, s60, v1                                  // 0000000059B4: 6802023C
	v_add_u32_e32 v2, s71, v1                                  // 0000000059B8: 68040247
	s_mul_i32 s60, 4, s71                                      // 0000000059BC: 923C4784
	v_add_u32_e32 v3, s60, v1                                  // 0000000059C0: 6806023C
	v_add_u32_e32 v4, s60, v2                                  // 0000000059C4: 6808043C
	s_mov_b32 s71, s51                                         // 0000000059C8: BEC70033
	v_lshrrev_b32_e32 v28, 4, v0                               // 0000000059CC: 20380084
	v_and_b32_e32 v29, 1, v28                                  // 0000000059D0: 263A3881
	v_lshlrev_b32_e32 v29, 1, v29                              // 0000000059D4: 243A3A81
	v_mul_i32_i24_e32 v29, s71, v29                            // 0000000059D8: 0C3A3A47
	v_and_b32_e32 v30, 2, v28                                  // 0000000059DC: 263C3882
	v_lshlrev_b32_e32 v30, 5, v30                              // 0000000059E0: 243C3C85
	v_add_u32_e32 v29, v30, v29                                // 0000000059E4: 683A3B1E
	v_and_b32_e32 v28, 15, v0                                  // 0000000059E8: 2638008F
	v_lshlrev_b32_e32 v28, 2, v28                              // 0000000059EC: 24383882
	v_add_u32_e32 v252, v28, v29                               // 0000000059F0: 69F83B1C
	s_and_b32 s60, 1, s46                                      // 0000000059F4: 863C2E81
	s_mul_i32 s60, s60, s71                                    // 0000000059F8: 923C473C
	s_mul_i32 s60, s60, 8                                      // 0000000059FC: 923C883C
	s_lshr_b32 s61, s46, 1                                     // 000000005A00: 8F3D812E
	s_mul_i32 s61, s61, 0x80                                   // 000000005A04: 923DFF3D 00000080
	s_add_u32 s60, s60, s61                                    // 000000005A0C: 803C3D3C
	v_add_u32_e32 v252, s60, v252                              // 000000005A10: 69F9F83C
	v_add_u32_e32 v253, s71, v252                              // 000000005A14: 69FBF847
	s_mul_i32 s60, 4, s71                                      // 000000005A18: 923C4784
	v_add_u32_e32 v254, s60, v252                              // 000000005A1C: 69FDF83C
	v_add_u32_e32 v255, s60, v253                              // 000000005A20: 69FFFA3C
	v_lshrrev_b32_e32 v1, 2, v1                                // 000000005A24: 20020282
	v_lshrrev_b32_e32 v2, 2, v2                                // 000000005A28: 20040482
	v_lshrrev_b32_e32 v3, 2, v3                                // 000000005A2C: 20060682
	v_lshrrev_b32_e32 v4, 2, v4                                // 000000005A30: 20080882
	v_lshrrev_b32_e32 v252, 2, v252                            // 000000005A34: 21F9F882
	v_lshrrev_b32_e32 v253, 2, v253                            // 000000005A38: 21FBFA82
	v_lshrrev_b32_e32 v254, 2, v254                            // 000000005A3C: 21FDFC82
	v_lshrrev_b32_e32 v255, 2, v255                            // 000000005A40: 21FFFE82
	v_mov_b32_e32 v32, 0                                       // 000000005A44: 7E400280
	s_mov_b64 exec, s[88:89]                                   // 000000005A48: BEFE0158
	buffer_load_dword v32, v1, s[8:11], 0 idxen                // 000000005A4C: E0502000 80022001
	s_mov_b64 exec, s[86:87]                                   // 000000005A54: BEFE0156
	v_mov_b32_e32 v33, 0                                       // 000000005A58: 7E420280
	s_mov_b64 exec, s[88:89]                                   // 000000005A5C: BEFE0158
	buffer_load_dword v33, v2, s[8:11], 0 idxen                // 000000005A60: E0502000 80022102
	s_mov_b64 exec, s[86:87]                                   // 000000005A68: BEFE0156
	v_mov_b32_e32 v34, 0                                       // 000000005A6C: 7E440280
	s_mov_b64 exec, s[88:89]                                   // 000000005A70: BEFE0158
	buffer_load_dword v34, v3, s[8:11], 0 idxen                // 000000005A74: E0502000 80022203
	s_mov_b64 exec, s[86:87]                                   // 000000005A7C: BEFE0156
	v_mov_b32_e32 v35, 0                                       // 000000005A80: 7E460280
	s_mov_b64 exec, s[88:89]                                   // 000000005A84: BEFE0158
	buffer_load_dword v35, v4, s[8:11], 0 idxen                // 000000005A88: E0502000 80022304
	s_mov_b64 exec, s[86:87]                                   // 000000005A90: BEFE0156
	v_mov_b32_e32 v40, 0                                       // 000000005A94: 7E500280
	s_mov_b64 exec, s[88:89]                                   // 000000005A98: BEFE0158
	buffer_load_dword v40, v252, s[20:23], 0 idxen             // 000000005A9C: E0502000 800528FC
	s_mov_b64 exec, s[86:87]                                   // 000000005AA4: BEFE0156
	v_mov_b32_e32 v41, 0                                       // 000000005AA8: 7E520280
	s_mov_b64 exec, s[88:89]                                   // 000000005AAC: BEFE0158
	buffer_load_dword v41, v253, s[20:23], 0 idxen             // 000000005AB0: E0502000 800529FD
	s_mov_b64 exec, s[86:87]                                   // 000000005AB8: BEFE0156
	v_mov_b32_e32 v42, 0                                       // 000000005ABC: 7E540280
	s_mov_b64 exec, s[88:89]                                   // 000000005AC0: BEFE0158
	buffer_load_dword v42, v254, s[20:23], 0 idxen             // 000000005AC4: E0502000 80052AFE
	s_mov_b64 exec, s[86:87]                                   // 000000005ACC: BEFE0156
	v_mov_b32_e32 v43, 0                                       // 000000005AD0: 7E560280
	s_mov_b64 exec, s[88:89]                                   // 000000005AD4: BEFE0158
	buffer_load_dword v43, v255, s[20:23], 0 idxen             // 000000005AD8: E0502000 80052BFF
	s_mov_b64 exec, s[86:87]                                   // 000000005AE0: BEFE0156
	s_waitcnt lgkmcnt(0)                                       // 000000005AE4: BF8CC07F
	s_barrier                                                  // 000000005AE8: BF8A0000
	ds_read_b128 a[96:99], v22                                 // 000000005AEC: DBFE0000 60000016
	ds_read_b128 a[100:103], v22 offset:512                    // 000000005AF4: DBFE0200 64000016
	ds_read_b128 a[104:107], v22 offset:2176                   // 000000005AFC: DBFE0880 68000016
	ds_read_b128 a[108:111], v22 offset:2688                   // 000000005B04: DBFE0A80 6C000016
	v_add_u32_e32 v1, s68, v1                                  // 000000005B0C: 68020244
	v_add_u32_e32 v2, s68, v2                                  // 000000005B10: 68040444
	v_add_u32_e32 v3, s68, v3                                  // 000000005B14: 68060644
	v_add_u32_e32 v4, s68, v4                                  // 000000005B18: 68080844
	v_add_u32_e32 v252, s97, v252                              // 000000005B1C: 69F9F861
	v_add_u32_e32 v253, s97, v253                              // 000000005B20: 69FBFA61
	v_add_u32_e32 v254, s97, v254                              // 000000005B24: 69FDFC61
	v_add_u32_e32 v255, s97, v255                              // 000000005B28: 69FFFE61
	s_waitcnt vmcnt(24) lgkmcnt(0)                             // 000000005B2C: BF8C4078
	s_barrier                                                  // 000000005B30: BF8A0000
	s_cmp_lt_i32 1, s73                                        // 000000005B34: BF044981
	s_cbranch_scc1 label_075F                                  // 000000005B38: BF850010
	v_mov_b32_e32 v168, 0                                      // 000000005B3C: 7F500280
	v_mov_b32_e32 v169, 0                                      // 000000005B40: 7F520280
	v_mov_b32_e32 v170, 0                                      // 000000005B44: 7F540280
	v_mov_b32_e32 v171, 0                                      // 000000005B48: 7F560280
	v_mov_b32_e32 v172, 0                                      // 000000005B4C: 7F580280
	v_mov_b32_e32 v173, 0                                      // 000000005B50: 7F5A0280
	v_mov_b32_e32 v174, 0                                      // 000000005B54: 7F5C0280
	v_mov_b32_e32 v175, 0                                      // 000000005B58: 7F5E0280
	v_mov_b32_e32 v176, 0                                      // 000000005B5C: 7F600280
	v_mov_b32_e32 v177, 0                                      // 000000005B60: 7F620280
	v_mov_b32_e32 v178, 0                                      // 000000005B64: 7F640280
	v_mov_b32_e32 v179, 0                                      // 000000005B68: 7F660280
	v_mov_b32_e32 v180, 0                                      // 000000005B6C: 7F680280
	v_mov_b32_e32 v181, 0                                      // 000000005B70: 7F6A0280
	v_mov_b32_e32 v182, 0                                      // 000000005B74: 7F6C0280
	v_mov_b32_e32 v183, 0                                      // 000000005B78: 7F6E0280

0000000000005b7c <label_075F>:
	ds_write_b32 v11, v168                                     // 000000005B7C: D81A0000 0000A80B
	ds_write_b32 v11, v169 offset:1056                         // 000000005B84: D81A0420 0000A90B
	ds_write_b32 v11, v170 offset:128                          // 000000005B8C: D81A0080 0000AA0B
	ds_write_b32 v11, v171 offset:1184                         // 000000005B94: D81A04A0 0000AB0B
	ds_write_b32 v11, v172 offset:4352                         // 000000005B9C: D81A1100 0000AC0B
	ds_write_b32 v11, v173 offset:5408                         // 000000005BA4: D81A1520 0000AD0B
	ds_write_b32 v11, v174 offset:4480                         // 000000005BAC: D81A1180 0000AE0B
	ds_write_b32 v11, v175 offset:5536                         // 000000005BB4: D81A15A0 0000AF0B
	ds_write_b32 v11, v176 offset:8704                         // 000000005BBC: D81A2200 0000B00B
	ds_write_b32 v11, v177 offset:9760                         // 000000005BC4: D81A2620 0000B10B
	ds_write_b32 v11, v178 offset:8832                         // 000000005BCC: D81A2280 0000B20B
	ds_write_b32 v11, v179 offset:9888                         // 000000005BD4: D81A26A0 0000B30B
	ds_write_b32 v11, v180 offset:13056                        // 000000005BDC: D81A3300 0000B40B
	ds_write_b32 v11, v181 offset:14112                        // 000000005BE4: D81A3720 0000B50B
	ds_write_b32 v11, v182 offset:13184                        // 000000005BEC: D81A3380 0000B60B
	ds_write_b32 v11, v183 offset:14240                        // 000000005BF4: D81A37A0 0000B70B
	v_mov_b32_e32 v36, 0                                       // 000000005BFC: 7E480280
	s_mov_b64 exec, s[88:89]                                   // 000000005C00: BEFE0158
	buffer_load_dword v36, v1, s[8:11], 0 idxen                // 000000005C04: E0502000 80022401
	s_mov_b64 exec, s[86:87]                                   // 000000005C0C: BEFE0156
	v_mov_b32_e32 v37, 0                                       // 000000005C10: 7E4A0280
	s_mov_b64 exec, s[88:89]                                   // 000000005C14: BEFE0158
	buffer_load_dword v37, v2, s[8:11], 0 idxen                // 000000005C18: E0502000 80022502
	s_mov_b64 exec, s[86:87]                                   // 000000005C20: BEFE0156
	v_mov_b32_e32 v38, 0                                       // 000000005C24: 7E4C0280
	s_mov_b64 exec, s[88:89]                                   // 000000005C28: BEFE0158
	buffer_load_dword v38, v3, s[8:11], 0 idxen                // 000000005C2C: E0502000 80022603
	s_mov_b64 exec, s[86:87]                                   // 000000005C34: BEFE0156
	v_mov_b32_e32 v39, 0                                       // 000000005C38: 7E4E0280
	s_mov_b64 exec, s[88:89]                                   // 000000005C3C: BEFE0158
	buffer_load_dword v39, v4, s[8:11], 0 idxen                // 000000005C40: E0502000 80022704
	s_mov_b64 exec, s[86:87]                                   // 000000005C48: BEFE0156
	v_mov_b32_e32 v44, 0                                       // 000000005C4C: 7E580280
	s_mov_b64 exec, s[88:89]                                   // 000000005C50: BEFE0158
	buffer_load_dword v44, v252, s[20:23], 0 idxen             // 000000005C54: E0502000 80052CFC
	s_mov_b64 exec, s[86:87]                                   // 000000005C5C: BEFE0156
	v_mov_b32_e32 v45, 0                                       // 000000005C60: 7E5A0280
	s_mov_b64 exec, s[88:89]                                   // 000000005C64: BEFE0158
	buffer_load_dword v45, v253, s[20:23], 0 idxen             // 000000005C68: E0502000 80052DFD
	s_mov_b64 exec, s[86:87]                                   // 000000005C70: BEFE0156
	v_mov_b32_e32 v46, 0                                       // 000000005C74: 7E5C0280
	s_mov_b64 exec, s[88:89]                                   // 000000005C78: BEFE0158
	buffer_load_dword v46, v254, s[20:23], 0 idxen             // 000000005C7C: E0502000 80052EFE
	s_mov_b64 exec, s[86:87]                                   // 000000005C84: BEFE0156
	v_mov_b32_e32 v47, 0                                       // 000000005C88: 7E5E0280
	s_mov_b64 exec, s[88:89]                                   // 000000005C8C: BEFE0158
	buffer_load_dword v47, v255, s[20:23], 0 idxen             // 000000005C90: E0502000 80052FFF
	s_mov_b64 exec, s[86:87]                                   // 000000005C98: BEFE0156
	s_waitcnt lgkmcnt(0)                                       // 000000005C9C: BF8CC07F
	s_barrier                                                  // 000000005CA0: BF8A0000
	ds_read_b128 a[112:115], v22                               // 000000005CA4: DBFE0000 70000016
	ds_read_b128 a[116:119], v22 offset:512                    // 000000005CAC: DBFE0200 74000016
	ds_read_b128 a[120:123], v22 offset:2176                   // 000000005CB4: DBFE0880 78000016
	ds_read_b128 a[124:127], v22 offset:2688                   // 000000005CBC: DBFE0A80 7C000016
	v_add_u32_e32 v1, s68, v1                                  // 000000005CC4: 68020244
	v_add_u32_e32 v2, s68, v2                                  // 000000005CC8: 68040444
	v_add_u32_e32 v3, s68, v3                                  // 000000005CCC: 68060644
	v_add_u32_e32 v4, s68, v4                                  // 000000005CD0: 68080844
	v_add_u32_e32 v252, s97, v252                              // 000000005CD4: 69F9F861
	v_add_u32_e32 v253, s97, v253                              // 000000005CD8: 69FBFA61
	v_add_u32_e32 v254, s97, v254                              // 000000005CDC: 69FDFC61
	v_add_u32_e32 v255, s97, v255                              // 000000005CE0: 69FFFE61
	s_waitcnt vmcnt(16) lgkmcnt(0)                             // 000000005CE4: BF8C4070
	s_barrier                                                  // 000000005CE8: BF8A0000
	s_cmp_lt_i32 2, s73                                        // 000000005CEC: BF044982
	s_cbranch_scc1 label_07CD                                  // 000000005CF0: BF850010
	v_mov_b32_e32 v184, 0                                      // 000000005CF4: 7F700280
	v_mov_b32_e32 v185, 0                                      // 000000005CF8: 7F720280
	v_mov_b32_e32 v186, 0                                      // 000000005CFC: 7F740280
	v_mov_b32_e32 v187, 0                                      // 000000005D00: 7F760280
	v_mov_b32_e32 v188, 0                                      // 000000005D04: 7F780280
	v_mov_b32_e32 v189, 0                                      // 000000005D08: 7F7A0280
	v_mov_b32_e32 v190, 0                                      // 000000005D0C: 7F7C0280
	v_mov_b32_e32 v191, 0                                      // 000000005D10: 7F7E0280
	v_mov_b32_e32 v192, 0                                      // 000000005D14: 7F800280
	v_mov_b32_e32 v193, 0                                      // 000000005D18: 7F820280
	v_mov_b32_e32 v194, 0                                      // 000000005D1C: 7F840280
	v_mov_b32_e32 v195, 0                                      // 000000005D20: 7F860280
	v_mov_b32_e32 v196, 0                                      // 000000005D24: 7F880280
	v_mov_b32_e32 v197, 0                                      // 000000005D28: 7F8A0280
	v_mov_b32_e32 v198, 0                                      // 000000005D2C: 7F8C0280
	v_mov_b32_e32 v199, 0                                      // 000000005D30: 7F8E0280

0000000000005d34 <label_07CD>:
	ds_write_b32 v11, v184                                     // 000000005D34: D81A0000 0000B80B
	ds_write_b32 v11, v185 offset:1056                         // 000000005D3C: D81A0420 0000B90B
	ds_write_b32 v11, v186 offset:128                          // 000000005D44: D81A0080 0000BA0B
	ds_write_b32 v11, v187 offset:1184                         // 000000005D4C: D81A04A0 0000BB0B
	ds_write_b32 v11, v188 offset:4352                         // 000000005D54: D81A1100 0000BC0B
	ds_write_b32 v11, v189 offset:5408                         // 000000005D5C: D81A1520 0000BD0B
	ds_write_b32 v11, v190 offset:4480                         // 000000005D64: D81A1180 0000BE0B
	ds_write_b32 v11, v191 offset:5536                         // 000000005D6C: D81A15A0 0000BF0B
	ds_write_b32 v11, v192 offset:8704                         // 000000005D74: D81A2200 0000C00B
	ds_write_b32 v11, v193 offset:9760                         // 000000005D7C: D81A2620 0000C10B
	ds_write_b32 v11, v194 offset:8832                         // 000000005D84: D81A2280 0000C20B
	ds_write_b32 v11, v195 offset:9888                         // 000000005D8C: D81A26A0 0000C30B
	ds_write_b32 v11, v196 offset:13056                        // 000000005D94: D81A3300 0000C40B
	ds_write_b32 v11, v197 offset:14112                        // 000000005D9C: D81A3720 0000C50B
	ds_write_b32 v11, v198 offset:13184                        // 000000005DA4: D81A3380 0000C60B
	ds_write_b32 v11, v199 offset:14240                        // 000000005DAC: D81A37A0 0000C70B
	s_waitcnt lgkmcnt(0)                                       // 000000005DB4: BF8CC07F
	s_barrier                                                  // 000000005DB8: BF8A0000
	ds_read_b128 a[128:131], v22                               // 000000005DBC: DBFE0000 80000016
	ds_read_b128 a[132:135], v22 offset:512                    // 000000005DC4: DBFE0200 84000016
	ds_read_b128 a[136:139], v22 offset:2176                   // 000000005DCC: DBFE0880 88000016
	ds_read_b128 a[140:143], v22 offset:2688                   // 000000005DD4: DBFE0A80 8C000016
	s_waitcnt vmcnt(8) lgkmcnt(0)                              // 000000005DDC: BF8C0078
	s_barrier                                                  // 000000005DE0: BF8A0000
	buffer_load_dword v9, s[24:27], 0 idxen lds                // 000000005DE4: E0512000 80060009
	s_mov_b32 m0, s77                                          // 000000005DEC: BEFC004D
	v_add_u32_e32 v9, s69, v9                                  // 000000005DF0: 68121245
	v_perm_b32 v84, v33, v32, s63                              // 000000005DF4: D1ED0054 00FE4121
	v_perm_b32 v85, v33, v32, s64                              // 000000005DFC: D1ED0055 01024121
	v_perm_b32 v86, v35, v34, s63                              // 000000005E04: D1ED0056 00FE4523
	v_perm_b32 v87, v35, v34, s64                              // 000000005E0C: D1ED0057 01024523
	ds_write_b32 v13, v84 offset:4352                          // 000000005E14: D81A1100 0000540D
	ds_write_b32 v13, v85 offset:5408                          // 000000005E1C: D81A1520 0000550D
	ds_write_b32 v13, v86 offset:4480                          // 000000005E24: D81A1180 0000560D
	ds_write_b32 v13, v87 offset:5536                          // 000000005E2C: D81A15A0 0000570D
	ds_write_b32 v11, v32                                      // 000000005E34: D81A0000 0000200B
	ds_write_b32 v11, v33 offset:1056                          // 000000005E3C: D81A0420 0000210B
	ds_write_b32 v11, v34 offset:128                           // 000000005E44: D81A0080 0000220B
	ds_write_b32 v11, v35 offset:1184                          // 000000005E4C: D81A04A0 0000230B
	buffer_load_dword v9, s[24:27], 0 idxen lds                // 000000005E54: E0512000 80060009
	s_mov_b32 m0, s76                                          // 000000005E5C: BEFC004C
	v_add_u32_e32 v9, s69, v9                                  // 000000005E60: 68121245
	v_perm_b32 v88, v41, v40, s63                              // 000000005E64: D1ED0058 00FE5129
	v_perm_b32 v89, v41, v40, s64                              // 000000005E6C: D1ED0059 01025129
	v_perm_b32 v90, v43, v42, s63                              // 000000005E74: D1ED005A 00FE552B
	v_perm_b32 v91, v43, v42, s64                              // 000000005E7C: D1ED005B 0102552B
	ds_write_b32 v13, v88 offset:13056                         // 000000005E84: D81A3300 0000580D
	ds_write_b32 v13, v89 offset:14112                         // 000000005E8C: D81A3720 0000590D
	ds_write_b32 v13, v90 offset:13184                         // 000000005E94: D81A3380 00005A0D
	ds_write_b32 v13, v91 offset:14240                         // 000000005E9C: D81A37A0 00005B0D
	ds_write_b32 v11, v40 offset:8704                          // 000000005EA4: D81A2200 0000280B
	ds_write_b32 v11, v41 offset:9760                          // 000000005EAC: D81A2620 0000290B
	ds_write_b32 v11, v42 offset:8832                          // 000000005EB4: D81A2280 00002A0B
	ds_write_b32 v11, v43 offset:9888                          // 000000005EBC: D81A26A0 00002B0B
	s_waitcnt vmcnt(1) lgkmcnt(0)                              // 000000005EC4: BF8C0071
	s_barrier                                                  // 000000005EC8: BF8A0000
	ds_read_b128 a[144:147], v10                               // 000000005ECC: DBFE0000 9000000A
	ds_read_b128 a[148:151], v10 offset:512                    // 000000005ED4: DBFE0200 9400000A
	ds_read_b128 a[152:155], v10 offset:2176                   // 000000005EDC: DBFE0880 9800000A
	ds_read_b128 a[156:159], v10 offset:2688                   // 000000005EE4: DBFE0A80 9C00000A
	ds_read_b128 v[92:95], v10 offset:8704                     // 000000005EEC: D9FE2200 5C00000A
	ds_read_b128 v[96:99], v10 offset:9216                     // 000000005EF4: D9FE2400 6000000A
	ds_read_b128 v[100:103], v10 offset:10880                  // 000000005EFC: D9FE2A80 6400000A
	ds_read_b128 v[104:107], v10 offset:11392                  // 000000005F04: D9FE2C80 6800000A
	ds_read_b32 v124, v21 offset:50688                         // 000000005F0C: D86CC600 7C000015
	ds_read_b32 v150, v21 offset:50944                         // 000000005F14: D86CC700 96000015
	v_accvgpr_write_b32 a160, 0                                // 000000005F1C: D3D940A0 18000080
	v_mov_b32_e32 v152, 0                                      // 000000005F24: 7F300280
	v_accvgpr_write_b32 a161, 0                                // 000000005F28: D3D940A1 18000080
	v_mov_b32_e32 v153, 0                                      // 000000005F30: 7F320280
	v_accvgpr_write_b32 a162, 0                                // 000000005F34: D3D940A2 18000080
	v_mov_b32_e32 v154, 0                                      // 000000005F3C: 7F340280
	v_accvgpr_write_b32 a163, 0                                // 000000005F40: D3D940A3 18000080
	v_mov_b32_e32 v155, 0                                      // 000000005F48: 7F360280
	v_accvgpr_write_b32 a164, 0                                // 000000005F4C: D3D940A4 18000080
	v_mov_b32_e32 v156, 0                                      // 000000005F54: 7F380280
	v_accvgpr_write_b32 a165, 0                                // 000000005F58: D3D940A5 18000080
	v_mov_b32_e32 v157, 0                                      // 000000005F60: 7F3A0280
	v_accvgpr_write_b32 a166, 0                                // 000000005F64: D3D940A6 18000080
	v_mov_b32_e32 v158, 0                                      // 000000005F6C: 7F3C0280
	v_accvgpr_write_b32 a167, 0                                // 000000005F70: D3D940A7 18000080
	v_mov_b32_e32 v159, 0                                      // 000000005F78: 7F3E0280
	v_accvgpr_write_b32 a168, 0                                // 000000005F7C: D3D940A8 18000080
	v_mov_b32_e32 v160, 0                                      // 000000005F84: 7F400280
	v_accvgpr_write_b32 a169, 0                                // 000000005F88: D3D940A9 18000080
	v_mov_b32_e32 v161, 0                                      // 000000005F90: 7F420280
	v_accvgpr_write_b32 a170, 0                                // 000000005F94: D3D940AA 18000080
	v_mov_b32_e32 v162, 0                                      // 000000005F9C: 7F440280
	v_accvgpr_write_b32 a171, 0                                // 000000005FA0: D3D940AB 18000080
	v_mov_b32_e32 v163, 0                                      // 000000005FA8: 7F460280
	v_accvgpr_write_b32 a172, 0                                // 000000005FAC: D3D940AC 18000080
	v_mov_b32_e32 v164, 0                                      // 000000005FB4: 7F480280
	v_accvgpr_write_b32 a173, 0                                // 000000005FB8: D3D940AD 18000080
	v_mov_b32_e32 v165, 0                                      // 000000005FC0: 7F4A0280
	v_accvgpr_write_b32 a174, 0                                // 000000005FC4: D3D940AE 18000080
	v_mov_b32_e32 v166, 0                                      // 000000005FCC: 7F4C0280
	v_accvgpr_write_b32 a175, 0                                // 000000005FD0: D3D940AF 18000080
	v_mov_b32_e32 v167, 0                                      // 000000005FD8: 7F4E0280
	v_accvgpr_write_b32 a176, 0                                // 000000005FDC: D3D940B0 18000080
	v_mov_b32_e32 v168, 0                                      // 000000005FE4: 7F500280
	v_accvgpr_write_b32 a177, 0                                // 000000005FE8: D3D940B1 18000080
	v_mov_b32_e32 v169, 0                                      // 000000005FF0: 7F520280
	v_accvgpr_write_b32 a178, 0                                // 000000005FF4: D3D940B2 18000080
	v_mov_b32_e32 v170, 0                                      // 000000005FFC: 7F540280
	v_accvgpr_write_b32 a179, 0                                // 000000006000: D3D940B3 18000080
	v_mov_b32_e32 v171, 0                                      // 000000006008: 7F560280
	v_accvgpr_write_b32 a180, 0                                // 00000000600C: D3D940B4 18000080
	v_mov_b32_e32 v172, 0                                      // 000000006014: 7F580280
	v_accvgpr_write_b32 a181, 0                                // 000000006018: D3D940B5 18000080
	v_mov_b32_e32 v173, 0                                      // 000000006020: 7F5A0280
	v_accvgpr_write_b32 a182, 0                                // 000000006024: D3D940B6 18000080
	v_mov_b32_e32 v174, 0                                      // 00000000602C: 7F5C0280
	v_accvgpr_write_b32 a183, 0                                // 000000006030: D3D940B7 18000080
	v_mov_b32_e32 v175, 0                                      // 000000006038: 7F5E0280
	v_accvgpr_write_b32 a184, 0                                // 00000000603C: D3D940B8 18000080
	v_mov_b32_e32 v176, 0                                      // 000000006044: 7F600280
	v_accvgpr_write_b32 a185, 0                                // 000000006048: D3D940B9 18000080
	v_mov_b32_e32 v177, 0                                      // 000000006050: 7F620280
	v_accvgpr_write_b32 a186, 0                                // 000000006054: D3D940BA 18000080
	v_mov_b32_e32 v178, 0                                      // 00000000605C: 7F640280
	v_accvgpr_write_b32 a187, 0                                // 000000006060: D3D940BB 18000080
	v_mov_b32_e32 v179, 0                                      // 000000006068: 7F660280
	v_accvgpr_write_b32 a188, 0                                // 00000000606C: D3D940BC 18000080
	v_mov_b32_e32 v180, 0                                      // 000000006074: 7F680280
	v_accvgpr_write_b32 a189, 0                                // 000000006078: D3D940BD 18000080
	v_mov_b32_e32 v181, 0                                      // 000000006080: 7F6A0280
	v_accvgpr_write_b32 a190, 0                                // 000000006084: D3D940BE 18000080
	v_mov_b32_e32 v182, 0                                      // 00000000608C: 7F6C0280
	v_accvgpr_write_b32 a191, 0                                // 000000006090: D3D940BF 18000080
	v_mov_b32_e32 v183, 0                                      // 000000006098: 7F6E0280
	v_accvgpr_write_b32 a192, 0                                // 00000000609C: D3D940C0 18000080
	v_mov_b32_e32 v184, 0                                      // 0000000060A4: 7F700280
	v_accvgpr_write_b32 a193, 0                                // 0000000060A8: D3D940C1 18000080
	v_mov_b32_e32 v185, 0                                      // 0000000060B0: 7F720280
	v_accvgpr_write_b32 a194, 0                                // 0000000060B4: D3D940C2 18000080
	v_mov_b32_e32 v186, 0                                      // 0000000060BC: 7F740280
	v_accvgpr_write_b32 a195, 0                                // 0000000060C0: D3D940C3 18000080
	v_mov_b32_e32 v187, 0                                      // 0000000060C8: 7F760280
	v_accvgpr_write_b32 a196, 0                                // 0000000060CC: D3D940C4 18000080
	v_mov_b32_e32 v188, 0                                      // 0000000060D4: 7F780280
	v_accvgpr_write_b32 a197, 0                                // 0000000060D8: D3D940C5 18000080
	v_mov_b32_e32 v189, 0                                      // 0000000060E0: 7F7A0280
	v_accvgpr_write_b32 a198, 0                                // 0000000060E4: D3D940C6 18000080
	v_mov_b32_e32 v190, 0                                      // 0000000060EC: 7F7C0280
	v_accvgpr_write_b32 a199, 0                                // 0000000060F0: D3D940C7 18000080
	v_mov_b32_e32 v191, 0                                      // 0000000060F8: 7F7E0280
	v_accvgpr_write_b32 a200, 0                                // 0000000060FC: D3D940C8 18000080
	v_mov_b32_e32 v192, 0                                      // 000000006104: 7F800280
	v_accvgpr_write_b32 a201, 0                                // 000000006108: D3D940C9 18000080
	v_mov_b32_e32 v193, 0                                      // 000000006110: 7F820280
	v_accvgpr_write_b32 a202, 0                                // 000000006114: D3D940CA 18000080
	v_mov_b32_e32 v194, 0                                      // 00000000611C: 7F840280
	v_accvgpr_write_b32 a203, 0                                // 000000006120: D3D940CB 18000080
	v_mov_b32_e32 v195, 0                                      // 000000006128: 7F860280
	v_accvgpr_write_b32 a204, 0                                // 00000000612C: D3D940CC 18000080
	v_mov_b32_e32 v196, 0                                      // 000000006134: 7F880280
	v_accvgpr_write_b32 a205, 0                                // 000000006138: D3D940CD 18000080
	v_mov_b32_e32 v197, 0                                      // 000000006140: 7F8A0280
	v_accvgpr_write_b32 a206, 0                                // 000000006144: D3D940CE 18000080
	v_mov_b32_e32 v198, 0                                      // 00000000614C: 7F8C0280
	v_accvgpr_write_b32 a207, 0                                // 000000006150: D3D940CF 18000080
	v_mov_b32_e32 v199, 0                                      // 000000006158: 7F8E0280
	v_accvgpr_write_b32 a208, 0                                // 00000000615C: D3D940D0 18000080
	v_mov_b32_e32 v200, 0                                      // 000000006164: 7F900280
	v_accvgpr_write_b32 a209, 0                                // 000000006168: D3D940D1 18000080
	v_mov_b32_e32 v201, 0                                      // 000000006170: 7F920280
	v_accvgpr_write_b32 a210, 0                                // 000000006174: D3D940D2 18000080
	v_mov_b32_e32 v202, 0                                      // 00000000617C: 7F940280
	v_accvgpr_write_b32 a211, 0                                // 000000006180: D3D940D3 18000080
	v_mov_b32_e32 v203, 0                                      // 000000006188: 7F960280
	v_accvgpr_write_b32 a212, 0                                // 00000000618C: D3D940D4 18000080
	v_mov_b32_e32 v204, 0                                      // 000000006194: 7F980280
	v_accvgpr_write_b32 a213, 0                                // 000000006198: D3D940D5 18000080
	v_mov_b32_e32 v205, 0                                      // 0000000061A0: 7F9A0280
	v_accvgpr_write_b32 a214, 0                                // 0000000061A4: D3D940D6 18000080
	v_mov_b32_e32 v206, 0                                      // 0000000061AC: 7F9C0280
	v_accvgpr_write_b32 a215, 0                                // 0000000061B0: D3D940D7 18000080
	v_mov_b32_e32 v207, 0                                      // 0000000061B8: 7F9E0280
	v_accvgpr_write_b32 a216, 0                                // 0000000061BC: D3D940D8 18000080
	v_mov_b32_e32 v208, 0                                      // 0000000061C4: 7FA00280
	v_accvgpr_write_b32 a217, 0                                // 0000000061C8: D3D940D9 18000080
	v_mov_b32_e32 v209, 0                                      // 0000000061D0: 7FA20280
	v_accvgpr_write_b32 a218, 0                                // 0000000061D4: D3D940DA 18000080
	v_mov_b32_e32 v210, 0                                      // 0000000061DC: 7FA40280
	v_accvgpr_write_b32 a219, 0                                // 0000000061E0: D3D940DB 18000080
	v_mov_b32_e32 v211, 0                                      // 0000000061E8: 7FA60280
	v_accvgpr_write_b32 a220, 0                                // 0000000061EC: D3D940DC 18000080
	v_mov_b32_e32 v212, 0                                      // 0000000061F4: 7FA80280
	v_accvgpr_write_b32 a221, 0                                // 0000000061F8: D3D940DD 18000080
	v_mov_b32_e32 v213, 0                                      // 000000006200: 7FAA0280
	v_accvgpr_write_b32 a222, 0                                // 000000006204: D3D940DE 18000080
	v_mov_b32_e32 v214, 0                                      // 00000000620C: 7FAC0280
	v_accvgpr_write_b32 a223, 0                                // 000000006210: D3D940DF 18000080
	v_mov_b32_e32 v215, 0                                      // 000000006218: 7FAE0280
	v_accvgpr_write_b32 a224, 0                                // 00000000621C: D3D940E0 18000080
	v_mov_b32_e32 v216, 0                                      // 000000006224: 7FB00280
	v_accvgpr_write_b32 a225, 0                                // 000000006228: D3D940E1 18000080
	v_mov_b32_e32 v217, 0                                      // 000000006230: 7FB20280
	v_accvgpr_write_b32 a226, 0                                // 000000006234: D3D940E2 18000080
	v_mov_b32_e32 v218, 0                                      // 00000000623C: 7FB40280
	v_accvgpr_write_b32 a227, 0                                // 000000006240: D3D940E3 18000080
	v_mov_b32_e32 v219, 0                                      // 000000006248: 7FB60280
	v_accvgpr_write_b32 a228, 0                                // 00000000624C: D3D940E4 18000080
	v_mov_b32_e32 v220, 0                                      // 000000006254: 7FB80280
	v_accvgpr_write_b32 a229, 0                                // 000000006258: D3D940E5 18000080
	v_mov_b32_e32 v221, 0                                      // 000000006260: 7FBA0280
	v_accvgpr_write_b32 a230, 0                                // 000000006264: D3D940E6 18000080
	v_mov_b32_e32 v222, 0                                      // 00000000626C: 7FBC0280
	v_accvgpr_write_b32 a231, 0                                // 000000006270: D3D940E7 18000080
	v_mov_b32_e32 v223, 0                                      // 000000006278: 7FBE0280
	v_accvgpr_write_b32 a232, 0                                // 00000000627C: D3D940E8 18000080
	v_mov_b32_e32 v224, 0                                      // 000000006284: 7FC00280
	v_accvgpr_write_b32 a233, 0                                // 000000006288: D3D940E9 18000080
	v_mov_b32_e32 v225, 0                                      // 000000006290: 7FC20280
	v_accvgpr_write_b32 a234, 0                                // 000000006294: D3D940EA 18000080
	v_mov_b32_e32 v226, 0                                      // 00000000629C: 7FC40280
	v_accvgpr_write_b32 a235, 0                                // 0000000062A0: D3D940EB 18000080
	v_mov_b32_e32 v227, 0                                      // 0000000062A8: 7FC60280
	v_accvgpr_write_b32 a236, 0                                // 0000000062AC: D3D940EC 18000080
	v_mov_b32_e32 v228, 0                                      // 0000000062B4: 7FC80280
	v_accvgpr_write_b32 a237, 0                                // 0000000062B8: D3D940ED 18000080
	v_mov_b32_e32 v229, 0                                      // 0000000062C0: 7FCA0280
	v_accvgpr_write_b32 a238, 0                                // 0000000062C4: D3D940EE 18000080
	v_mov_b32_e32 v230, 0                                      // 0000000062CC: 7FCC0280
	v_accvgpr_write_b32 a239, 0                                // 0000000062D0: D3D940EF 18000080
	v_mov_b32_e32 v231, 0                                      // 0000000062D8: 7FCE0280
	v_accvgpr_write_b32 a240, 0                                // 0000000062DC: D3D940F0 18000080
	v_mov_b32_e32 v232, 0                                      // 0000000062E4: 7FD00280
	v_accvgpr_write_b32 a241, 0                                // 0000000062E8: D3D940F1 18000080
	v_mov_b32_e32 v233, 0                                      // 0000000062F0: 7FD20280
	v_accvgpr_write_b32 a242, 0                                // 0000000062F4: D3D940F2 18000080
	v_mov_b32_e32 v234, 0                                      // 0000000062FC: 7FD40280
	v_accvgpr_write_b32 a243, 0                                // 000000006300: D3D940F3 18000080
	v_mov_b32_e32 v235, 0                                      // 000000006308: 7FD60280
	v_accvgpr_write_b32 a244, 0                                // 00000000630C: D3D940F4 18000080
	v_mov_b32_e32 v236, 0                                      // 000000006314: 7FD80280
	v_accvgpr_write_b32 a245, 0                                // 000000006318: D3D940F5 18000080
	v_mov_b32_e32 v237, 0                                      // 000000006320: 7FDA0280
	v_accvgpr_write_b32 a246, 0                                // 000000006324: D3D940F6 18000080
	v_mov_b32_e32 v238, 0                                      // 00000000632C: 7FDC0280
	v_accvgpr_write_b32 a247, 0                                // 000000006330: D3D940F7 18000080
	v_mov_b32_e32 v239, 0                                      // 000000006338: 7FDE0280
	v_accvgpr_write_b32 a248, 0                                // 00000000633C: D3D940F8 18000080
	v_mov_b32_e32 v240, 0                                      // 000000006344: 7FE00280
	v_accvgpr_write_b32 a249, 0                                // 000000006348: D3D940F9 18000080
	v_mov_b32_e32 v241, 0                                      // 000000006350: 7FE20280
	v_accvgpr_write_b32 a250, 0                                // 000000006354: D3D940FA 18000080
	v_mov_b32_e32 v242, 0                                      // 00000000635C: 7FE40280
	v_accvgpr_write_b32 a251, 0                                // 000000006360: D3D940FB 18000080
	v_mov_b32_e32 v243, 0                                      // 000000006368: 7FE60280
	v_accvgpr_write_b32 a252, 0                                // 00000000636C: D3D940FC 18000080
	v_mov_b32_e32 v244, 0                                      // 000000006374: 7FE80280
	v_accvgpr_write_b32 a253, 0                                // 000000006378: D3D940FD 18000080
	v_mov_b32_e32 v245, 0                                      // 000000006380: 7FEA0280
	v_accvgpr_write_b32 a254, 0                                // 000000006384: D3D940FE 18000080
	v_mov_b32_e32 v246, 0                                      // 00000000638C: 7FEC0280
	v_accvgpr_write_b32 a255, 0                                // 000000006390: D3D940FF 18000080
	v_mov_b32_e32 v247, 0                                      // 000000006398: 7FEE0280
	v_mov_b32_e32 v136, 0                                      // 00000000639C: 7F100280
	v_mov_b32_e32 v137, 0                                      // 0000000063A0: 7F120280
	v_mov_b32_e32 v138, 0                                      // 0000000063A4: 7F140280
	v_mov_b32_e32 v139, 0                                      // 0000000063A8: 7F160280
	v_mov_b32_e32 v140, 0                                      // 0000000063AC: 7F180280
	v_mov_b32_e32 v141, 0                                      // 0000000063B0: 7F1A0280
	v_mov_b32_e32 v142, 0                                      // 0000000063B4: 7F1C0280
	v_mov_b32_e32 v143, 0                                      // 0000000063B8: 7F1E0280
	v_mov_b32_e32 v128, 0                                      // 0000000063BC: 7F000280
	v_mov_b32_e32 v129, 0                                      // 0000000063C0: 7F020280
	v_mov_b32_e32 v130, 0                                      // 0000000063C4: 7F040280
	v_mov_b32_e32 v131, 0                                      // 0000000063C8: 7F060280
	v_mov_b32_e32 v132, 0                                      // 0000000063CC: 7F080280
	v_mov_b32_e32 v133, 0                                      // 0000000063D0: 7F0A0280
	v_mov_b32_e32 v134, 0                                      // 0000000063D4: 7F0C0280
	v_mov_b32_e32 v135, 0                                      // 0000000063D8: 7F0E0280
	s_waitcnt lgkmcnt(0)                                       // 0000000063DC: BF8CC07F
	s_barrier                                                  // 0000000063E0: BF8A0000
	v_mov_b32_e32 v32, 0                                       // 0000000063E4: 7E400280
	s_mov_b64 exec, s[88:89]                                   // 0000000063E8: BEFE0158
	buffer_load_dword v32, v1, s[8:11], 0 idxen                // 0000000063EC: E0502000 80022001
	s_mov_b64 exec, s[86:87]                                   // 0000000063F4: BEFE0156
	v_mov_b32_e32 v33, 0                                       // 0000000063F8: 7E420280
	s_mov_b64 exec, s[88:89]                                   // 0000000063FC: BEFE0158
	buffer_load_dword v33, v2, s[8:11], 0 idxen                // 000000006400: E0502000 80022102
	s_mov_b64 exec, s[86:87]                                   // 000000006408: BEFE0156
	v_mov_b32_e32 v34, 0                                       // 00000000640C: 7E440280
	s_mov_b64 exec, s[88:89]                                   // 000000006410: BEFE0158
	buffer_load_dword v34, v3, s[8:11], 0 idxen                // 000000006414: E0502000 80022203
	s_mov_b64 exec, s[86:87]                                   // 00000000641C: BEFE0156
	v_mov_b32_e32 v35, 0                                       // 000000006420: 7E460280
	s_mov_b64 exec, s[88:89]                                   // 000000006424: BEFE0158
	buffer_load_dword v35, v4, s[8:11], 0 idxen                // 000000006428: E0502000 80022304
	s_mov_b64 exec, s[86:87]                                   // 000000006430: BEFE0156
	v_mov_b32_e32 v40, 0                                       // 000000006434: 7E500280
	s_mov_b64 exec, s[88:89]                                   // 000000006438: BEFE0158
	buffer_load_dword v40, v252, s[20:23], 0 idxen             // 00000000643C: E0502000 800528FC
	s_mov_b64 exec, s[86:87]                                   // 000000006444: BEFE0156
	v_mov_b32_e32 v41, 0                                       // 000000006448: 7E520280
	s_mov_b64 exec, s[88:89]                                   // 00000000644C: BEFE0158
	buffer_load_dword v41, v253, s[20:23], 0 idxen             // 000000006450: E0502000 800529FD
	s_mov_b64 exec, s[86:87]                                   // 000000006458: BEFE0156
	v_mov_b32_e32 v42, 0                                       // 00000000645C: 7E540280
	s_mov_b64 exec, s[88:89]                                   // 000000006460: BEFE0158
	buffer_load_dword v42, v254, s[20:23], 0 idxen             // 000000006464: E0502000 80052AFE
	s_mov_b64 exec, s[86:87]                                   // 00000000646C: BEFE0156
	v_mov_b32_e32 v43, 0                                       // 000000006470: 7E560280
	s_mov_b64 exec, s[88:89]                                   // 000000006474: BEFE0158
	buffer_load_dword v43, v255, s[20:23], 0 idxen             // 000000006478: E0502000 80052BFF
	s_mov_b64 exec, s[86:87]                                   // 000000006480: BEFE0156
	buffer_load_dword v9, s[24:27], 0 idxen lds                // 000000006484: E0512000 80060009
	s_mov_b32 m0, s77                                          // 00000000648C: BEFC004D
	v_add_u32_e32 v9, s69, v9                                  // 000000006490: 68121245
	v_add_u32_e32 v1, s68, v1                                  // 000000006494: 68020244
	;; [unrolled: 1-line block ×3, first 2 shown]
	v_add_u32_e32 v3, s68, v3                                  // 00000000649C: 68060644
	v_add_u32_e32 v4, s68, v4                                  // 0000000064A0: 68080844
	v_add_u32_e32 v252, s97, v252                              // 0000000064A4: 69F9F861
	v_add_u32_e32 v253, s97, v253                              // 0000000064A8: 69FBFA61
	v_add_u32_e32 v254, s97, v254                              // 0000000064AC: 69FDFC61
	v_add_u32_e32 v255, s97, v255                              // 0000000064B0: 69FFFE61
	v_cmp_eq_u32_e32 vcc, v124, v151                           // 0000000064B4: 7D952F7C
	v_mov_b32_e32 v28, 0                                       // 0000000064B8: 7E380280
	v_cndmask_b32_e32 v124, v124, v28, vcc                     // 0000000064BC: 00F8397C
	v_mul_f32_e32 v124, s48, v124                              // 0000000064C0: 0AF8F830
	v_perm_b32 v84, v37, v36, s63                              // 0000000064C4: D1ED0054 00FE4925
	v_perm_b32 v85, v37, v36, s64                              // 0000000064CC: D1ED0055 01024925
	v_perm_b32 v86, v39, v38, s63                              // 0000000064D4: D1ED0056 00FE4D27
	v_perm_b32 v87, v39, v38, s64                              // 0000000064DC: D1ED0057 01024D27
	v_perm_b32 v88, v45, v44, s63                              // 0000000064E4: D1ED0058 00FE592D
	v_perm_b32 v89, v45, v44, s64                              // 0000000064EC: D1ED0059 0102592D
	v_perm_b32 v90, v47, v46, s63                              // 0000000064F4: D1ED005A 00FE5D2F
	v_perm_b32 v91, v47, v46, s64                              // 0000000064FC: D1ED005B 01025D2F
	v_mov_b32_dpp v127, v124 quad_perm:[3,3,3,3] row_mask:0xf bank_mask:0xf// 000000006504: 7EFE02FA FF00FF7C
	v_mov_b32_dpp v126, v124 quad_perm:[2,2,2,2] row_mask:0xf bank_mask:0xf// 00000000650C: 7EFC02FA FF00AA7C
	v_mov_b32_dpp v125, v124 quad_perm:[1,1,1,1] row_mask:0xf bank_mask:0xf// 000000006514: 7EFA02FA FF00557C
	v_mov_b32_dpp v124, v124 quad_perm:[0,0,0,0] row_mask:0xf bank_mask:0xf// 00000000651C: 7EF802FA FF00007C
	s_waitcnt vmcnt(9)                                         // 000000006524: BF8C0F79
	s_barrier                                                  // 000000006528: BF8A0000
	s_cmp_lt_i32 s46, 2                                        // 00000000652C: BF04822E
	s_cbranch_scc0 label_11B1                                  // 000000006530: BF8407D8
	s_nop 0                                                    // 000000006534: BF800000
	s_nop 0                                                    // 000000006538: BF800000

000000000000653c <label_09CF>:
	s_waitcnt lgkmcnt(0)                                       // 00000000653C: BF8CC07F
	s_barrier                                                  // 000000006540: BF8A0000
	v_mfma_f32_16x16x16_bf16 v[48:51], a[144:145], a[0:1], 0   // 000000006544: D3E10030 1A020190
	ds_write_b32 v11, v44 offset:8704                          // 00000000654C: D81A2200 00002C0B
	ds_write_b32 v11, v45 offset:9760                          // 000000006554: D81A2620 00002D0B
	v_mfma_f32_16x16x16_bf16 v[48:51], a[146:147], a[2:3], v[48:51]// 00000000655C: D3E10030 1CC20592
	v_mul_f32_e32 v128, s47, v128                              // 000000006564: 0B01002F
	v_mul_f32_e32 v129, s47, v129                              // 000000006568: 0B03022F
	v_mfma_f32_16x16x16_bf16 v[48:51], a[148:149], a[4:5], v[48:51]// 00000000656C: D3E10030 1CC20994
	ds_write_b32 v11, v46 offset:8832                          // 000000006574: D81A2280 00002E0B
	ds_write_b32 v11, v47 offset:9888                          // 00000000657C: D81A26A0 00002F0B
	v_mfma_f32_16x16x16_bf16 v[48:51], a[150:151], a[6:7], v[48:51]// 000000006584: D3E10030 1CC20D96
	v_mul_f32_e32 v130, s47, v130                              // 00000000658C: 0B05042F
	v_mul_f32_e32 v131, s47, v131                              // 000000006590: 0B07062F
	v_mfma_f32_16x16x16_bf16 v[48:51], a[152:153], a[8:9], v[48:51]// 000000006594: D3E10030 1CC21198
	ds_write_b64 v20, v[128:129] offset:24320                  // 00000000659C: D89A5F00 00008014
	v_mfma_f32_16x16x16_bf16 v[48:51], a[154:155], a[10:11], v[48:51]// 0000000065A4: D3E10030 1CC2159A
	v_mul_f32_e32 v132, s47, v132                              // 0000000065AC: 0B09082F
	v_mul_f32_e32 v133, s47, v133                              // 0000000065B0: 0B0B0A2F
	v_mfma_f32_16x16x16_bf16 v[48:51], a[156:157], a[12:13], v[48:51]// 0000000065B4: D3E10030 1CC2199C
	ds_write_b64 v20, v[130:131] offset:24832                  // 0000000065BC: D89A6100 00008214
	v_mfma_f32_16x16x16_bf16 v[48:51], a[158:159], a[14:15], v[48:51]// 0000000065C4: D3E10030 1CC21D9E
	v_mul_f32_e32 v134, s47, v134                              // 0000000065CC: 0B0D0C2F
	v_mul_f32_e32 v135, s47, v135                              // 0000000065D0: 0B0F0E2F
	v_mfma_f32_16x16x16_bf16 v[52:55], a[144:145], a[16:17], 0 // 0000000065D4: D3E10034 1A022190
	ds_write_b64 v20, v[132:133] offset:25344                  // 0000000065DC: D89A6300 00008414
	v_mfma_f32_16x16x16_bf16 v[52:55], a[146:147], a[18:19], v[52:55]// 0000000065E4: D3E10034 1CD22592
	buffer_atomic_add_f32 v140, v7, s[32:35], 0 offen offset:256// 0000000065EC: E1341100 80088C07
	v_mfma_f32_16x16x16_bf16 v[52:55], a[148:149], a[20:21], v[52:55]// 0000000065F4: D3E10034 1CD22994
	ds_write_b64 v20, v[134:135] offset:25856                  // 0000000065FC: D89A6500 00008614
	v_mfma_f32_16x16x16_bf16 v[52:55], a[150:151], a[22:23], v[52:55]// 000000006604: D3E10034 1CD22D96
	v_mfma_f32_16x16x16_bf16 v[52:55], a[152:153], a[24:25], v[52:55]// 00000000660C: D3E10034 1CD23198
	ds_read_b128 v[108:111], v12 offset:13056                  // 000000006614: D9FE3300 6C00000C
	ds_write_b32 v11, v36                                      // 00000000661C: D81A0000 0000240B
	v_mfma_f32_16x16x16_bf16 v[52:55], a[154:155], a[26:27], v[52:55]// 000000006624: D3E10034 1CD2359A
	buffer_atomic_add_f32 v141, v8, s[32:35], 0 offen offset:256// 00000000662C: E1341100 80088D08
	v_mfma_f32_16x16x16_bf16 v[52:55], a[156:157], a[28:29], v[52:55]// 000000006634: D3E10034 1CD2399C
	v_mfma_f32_16x16x16_bf16 v[52:55], a[158:159], a[30:31], v[52:55]// 00000000663C: D3E10034 1CD23D9E
	ds_read_b128 v[112:115], v12 offset:13568                  // 000000006644: D9FE3500 7000000C
	ds_write_b32 v11, v37 offset:1056                          // 00000000664C: D81A0420 0000250B
	v_mfma_f32_16x16x16_bf16 v[56:59], a[144:145], a[32:33], 0 // 000000006654: D3E10038 1A024190
	buffer_atomic_add_f32 v142, v7, s[32:35], 0 offen offset:384// 00000000665C: E1341180 80088E07
	v_mfma_f32_16x16x16_bf16 v[56:59], a[146:147], a[34:35], v[56:59]// 000000006664: D3E10038 1CE24592
	v_mfma_f32_16x16x16_bf16 v[56:59], a[148:149], a[36:37], v[56:59]// 00000000666C: D3E10038 1CE24994
	ds_read_b128 v[116:119], v12 offset:15232                  // 000000006674: D9FE3B80 7400000C
	ds_write_b32 v11, v38 offset:128                           // 00000000667C: D81A0080 0000260B
	v_mfma_f32_16x16x16_bf16 v[56:59], a[150:151], a[38:39], v[56:59]// 000000006684: D3E10038 1CE24D96
	v_mfma_f32_16x16x16_bf16 v[56:59], a[152:153], a[40:41], v[56:59]// 00000000668C: D3E10038 1CE25198
	buffer_atomic_add_f32 v143, v8, s[32:35], 0 offen offset:384// 000000006694: E1341180 80088F08
	v_mfma_f32_16x16x16_bf16 v[56:59], a[154:155], a[42:43], v[56:59]// 00000000669C: D3E10038 1CE2559A
	ds_read_b128 v[120:123], v12 offset:15744                  // 0000000066A4: D9FE3D80 7800000C
	ds_write_b32 v11, v39 offset:1184                          // 0000000066AC: D81A04A0 0000270B
	v_mfma_f32_16x16x16_bf16 v[56:59], a[156:157], a[44:45], v[56:59]// 0000000066B4: D3E10038 1CE2599C
	v_mfma_f32_16x16x16_bf16 v[56:59], a[158:159], a[46:47], v[56:59]// 0000000066BC: D3E10038 1CE25D9E
	s_add_i32 s82, s59, s99                                    // 0000000066C4: 8152633B
	s_sub_i32 s82, s82, 1                                      // 0000000066C8: 81D28152
	s_add_i32 s81, s59, 16                                     // 0000000066CC: 8151903B
	s_sub_i32 s81, s81, s100                                   // 0000000066D0: 81D16451
	s_add_i32 s81, s81, 1                                      // 0000000066D4: 81518151
	s_branch label_0A37                                        // 0000000066D8: BF820000

00000000000066dc <label_0A37>:
	s_add_i32 s62, 0, s46                                      // 0000000066DC: 813E2E80
	s_mul_i32 s62, s62, 16                                     // 0000000066E0: 923E903E
	s_add_i32 s62, s80, s62                                    // 0000000066E4: 813E3E50
	s_add_i32 s61, s62, 16                                     // 0000000066E8: 813D903E
	s_add_i32 s61, s61, 16                                     // 0000000066EC: 813D903D
	s_cmp_lt_i32 s61, s81                                      // 0000000066F0: BF04513D
	s_cselect_b32 s60, 1, 0                                    // 0000000066F4: 853C8081
	s_sub_i32 s62, s62, 16                                     // 0000000066F8: 81BE903E
	s_cmp_gt_i32 s62, s82                                      // 0000000066FC: BF02523E
	s_cselect_b32 s61, 1, 0                                    // 000000006700: 853D8081
	s_or_b32 s60, s60, s61                                     // 000000006704: 873C3D3C
	s_cmp_eq_i32 s60, 1                                        // 000000006708: BF00813C
	s_cbranch_scc1 label_0ACA                                  // 00000000670C: BF850085
	s_add_i32 s61, s62, 32                                     // 000000006710: 813DA03E
	s_add_i32 s62, s62, 16                                     // 000000006714: 813E903E
	s_cmp_lt_i32 s62, s81                                      // 000000006718: BF04513E
	s_cselect_b32 s60, 1, 0                                    // 00000000671C: 853C8081
	s_cmp_gt_i32 s61, s82                                      // 000000006720: BF02523D
	s_cselect_b32 s61, 1, 0                                    // 000000006724: 853D8081
	s_or_b32 s60, s60, s61                                     // 000000006728: 873C3D3C
	s_cmp_eq_i32 s60, 1                                        // 00000000672C: BF00813C
	s_cbranch_scc1 label_0A7D                                  // 000000006730: BF85002F
	s_branch label_0A4E                                        // 000000006734: BF820000

0000000000006738 <label_0A4E>:
	s_add_i32 s62, 4, s46                                      // 000000006738: 813E2E84
	s_mul_i32 s62, s62, 16                                     // 00000000673C: 923E903E
	s_add_i32 s62, s80, s62                                    // 000000006740: 813E3E50
	s_add_i32 s61, s62, 16                                     // 000000006744: 813D903E
	s_add_i32 s61, s61, 16                                     // 000000006748: 813D903D
	s_cmp_lt_i32 s61, s81                                      // 00000000674C: BF04513D
	s_cselect_b32 s60, 1, 0                                    // 000000006750: 853C8081
	s_sub_i32 s62, s62, 16                                     // 000000006754: 81BE903E
	s_cmp_gt_i32 s62, s82                                      // 000000006758: BF02523E
	s_cselect_b32 s61, 1, 0                                    // 00000000675C: 853D8081
	s_or_b32 s60, s60, s61                                     // 000000006760: 873C3D3C
	s_cmp_eq_i32 s60, 1                                        // 000000006764: BF00813C
	s_cbranch_scc1 label_0B1C                                  // 000000006768: BF8500C0
	s_add_i32 s61, s62, 32                                     // 00000000676C: 813DA03E
	s_add_i32 s62, s62, 16                                     // 000000006770: 813E903E
	s_cmp_lt_i32 s62, s81                                      // 000000006774: BF04513E
	s_cselect_b32 s60, 1, 0                                    // 000000006778: 853C8081
	s_cmp_gt_i32 s61, s82                                      // 00000000677C: BF02523D
	s_cselect_b32 s61, 1, 0                                    // 000000006780: 853D8081
	s_or_b32 s60, s60, s61                                     // 000000006784: 873C3D3C
	s_cmp_eq_i32 s60, 1                                        // 000000006788: BF00813C
	s_cbranch_scc1 label_0ACF                                  // 00000000678C: BF85006A
	s_branch label_0A65                                        // 000000006790: BF820000

0000000000006794 <label_0A65>:
	s_add_i32 s62, 8, s46                                      // 000000006794: 813E2E88
	s_mul_i32 s62, s62, 16                                     // 000000006798: 923E903E
	s_add_i32 s62, s80, s62                                    // 00000000679C: 813E3E50
	s_add_i32 s61, s62, 16                                     // 0000000067A0: 813D903E
	s_add_i32 s61, s61, 16                                     // 0000000067A4: 813D903D
	s_cmp_lt_i32 s61, s81                                      // 0000000067A8: BF04513D
	s_cselect_b32 s60, 1, 0                                    // 0000000067AC: 853C8081
	s_sub_i32 s62, s62, 16                                     // 0000000067B0: 81BE903E
	s_cmp_gt_i32 s62, s82                                      // 0000000067B4: BF02523E
	s_cselect_b32 s61, 1, 0                                    // 0000000067B8: 853D8081
	s_or_b32 s60, s60, s61                                     // 0000000067BC: 873C3D3C
	s_cmp_eq_i32 s60, 1                                        // 0000000067C0: BF00813C
	s_cbranch_scc1 label_0B6E                                  // 0000000067C4: BF8500FB
	s_add_i32 s61, s62, 32                                     // 0000000067C8: 813DA03E
	s_add_i32 s62, s62, 16                                     // 0000000067CC: 813E903E
	s_cmp_lt_i32 s62, s81                                      // 0000000067D0: BF04513E
	s_cselect_b32 s60, 1, 0                                    // 0000000067D4: 853C8081
	s_cmp_gt_i32 s61, s82                                      // 0000000067D8: BF02523D
	s_cselect_b32 s61, 1, 0                                    // 0000000067DC: 853D8081
	s_or_b32 s60, s60, s61                                     // 0000000067E0: 873C3D3C
	s_cmp_eq_i32 s60, 1                                        // 0000000067E4: BF00813C
	s_cbranch_scc1 label_0B21                                  // 0000000067E8: BF8500A5
	s_branch label_0B73                                        // 0000000067EC: BF8200F6

00000000000067f0 <label_0A7D>:
	v_and_b32_e32 v28, 15, v0                                  // 0000000067F0: 2638008F
	v_add_u32_e32 v28, s62, v28                                // 0000000067F4: 6838383E
	v_lshrrev_b32_e32 v29, 4, v0                               // 0000000067F8: 203A0084
	v_lshlrev_b32_e32 v29, 2, v29                              // 0000000067FC: 243A3A82
	v_add_i32 v29, 0, v29                                      // 000000006800: D29C001D 00023A80
	v_add_i32 v29, s59, v29                                    // 000000006808: D29C001D 00023A3B
	v_sub_i32 v29, v29, v28                                    // 000000006810: D29D001D 0002391D
	v_cmp_ge_i32_e64 vcc, v29, s100                            // 000000006818: D0C6006A 0000C91D
	v_sub_i32 v29, 0, v29                                      // 000000006820: D29D001D 00023A80
	v_cndmask_b32_e32 v48, v48, v151, vcc                      // 000000006828: 00612F30
	v_cmp_ge_i32_e64 vcc, v29, s99                             // 00000000682C: D0C6006A 0000C71D
	s_nop 1                                                    // 000000006834: BF800001
	v_cndmask_b32_e32 v48, v48, v151, vcc                      // 000000006838: 00612F30
	v_and_b32_e32 v28, 15, v0                                  // 00000000683C: 2638008F
	v_add_u32_e32 v28, s62, v28                                // 000000006840: 6838383E
	v_lshrrev_b32_e32 v29, 4, v0                               // 000000006844: 203A0084
	v_lshlrev_b32_e32 v29, 2, v29                              // 000000006848: 243A3A82
	v_add_i32 v29, 1, v29                                      // 00000000684C: D29C001D 00023A81
	v_add_i32 v29, s59, v29                                    // 000000006854: D29C001D 00023A3B
	v_sub_i32 v29, v29, v28                                    // 00000000685C: D29D001D 0002391D
	v_cmp_ge_i32_e64 vcc, v29, s100                            // 000000006864: D0C6006A 0000C91D
	v_sub_i32 v29, 0, v29                                      // 00000000686C: D29D001D 00023A80
	v_cndmask_b32_e32 v49, v49, v151, vcc                      // 000000006874: 00632F31
	v_cmp_ge_i32_e64 vcc, v29, s99                             // 000000006878: D0C6006A 0000C71D
	s_nop 1                                                    // 000000006880: BF800001
	v_cndmask_b32_e32 v49, v49, v151, vcc                      // 000000006884: 00632F31
	v_and_b32_e32 v28, 15, v0                                  // 000000006888: 2638008F
	v_add_u32_e32 v28, s62, v28                                // 00000000688C: 6838383E
	v_lshrrev_b32_e32 v29, 4, v0                               // 000000006890: 203A0084
	v_lshlrev_b32_e32 v29, 2, v29                              // 000000006894: 243A3A82
	v_add_i32 v29, 2, v29                                      // 000000006898: D29C001D 00023A82
	v_add_i32 v29, s59, v29                                    // 0000000068A0: D29C001D 00023A3B
	v_sub_i32 v29, v29, v28                                    // 0000000068A8: D29D001D 0002391D
	v_cmp_ge_i32_e64 vcc, v29, s100                            // 0000000068B0: D0C6006A 0000C91D
	v_sub_i32 v29, 0, v29                                      // 0000000068B8: D29D001D 00023A80
	v_cndmask_b32_e32 v50, v50, v151, vcc                      // 0000000068C0: 00652F32
	v_cmp_ge_i32_e64 vcc, v29, s99                             // 0000000068C4: D0C6006A 0000C71D
	s_nop 1                                                    // 0000000068CC: BF800001
	v_cndmask_b32_e32 v50, v50, v151, vcc                      // 0000000068D0: 00652F32
	v_and_b32_e32 v28, 15, v0                                  // 0000000068D4: 2638008F
	v_add_u32_e32 v28, s62, v28                                // 0000000068D8: 6838383E
	v_lshrrev_b32_e32 v29, 4, v0                               // 0000000068DC: 203A0084
	v_lshlrev_b32_e32 v29, 2, v29                              // 0000000068E0: 243A3A82
	v_add_i32 v29, 3, v29                                      // 0000000068E4: D29C001D 00023A83
	v_add_i32 v29, s59, v29                                    // 0000000068EC: D29C001D 00023A3B
	v_sub_i32 v29, v29, v28                                    // 0000000068F4: D29D001D 0002391D
	v_cmp_ge_i32_e64 vcc, v29, s100                            // 0000000068FC: D0C6006A 0000C91D
	v_sub_i32 v29, 0, v29                                      // 000000006904: D29D001D 00023A80
	v_cndmask_b32_e32 v51, v51, v151, vcc                      // 00000000690C: 00672F33
	v_cmp_ge_i32_e64 vcc, v29, s99                             // 000000006910: D0C6006A 0000C71D
	s_nop 1                                                    // 000000006918: BF800001
	v_cndmask_b32_e32 v51, v51, v151, vcc                      // 00000000691C: 00672F33
	s_branch label_0A4E                                        // 000000006920: BF82FF85

0000000000006924 <label_0ACA>:
	v_mov_b32_e32 v48, v151                                    // 000000006924: 7E600397
	v_mov_b32_e32 v49, v151                                    // 000000006928: 7E620397
	v_mov_b32_e32 v50, v151                                    // 00000000692C: 7E640397
	v_mov_b32_e32 v51, v151                                    // 000000006930: 7E660397
	s_branch label_0A4E                                        // 000000006934: BF82FF80

0000000000006938 <label_0ACF>:
	v_and_b32_e32 v28, 15, v0                                  // 000000006938: 2638008F
	v_add_u32_e32 v28, s62, v28                                // 00000000693C: 6838383E
	v_lshrrev_b32_e32 v29, 4, v0                               // 000000006940: 203A0084
	v_lshlrev_b32_e32 v29, 2, v29                              // 000000006944: 243A3A82
	v_add_i32 v29, 0, v29                                      // 000000006948: D29C001D 00023A80
	v_add_i32 v29, s59, v29                                    // 000000006950: D29C001D 00023A3B
	v_sub_i32 v29, v29, v28                                    // 000000006958: D29D001D 0002391D
	v_cmp_ge_i32_e64 vcc, v29, s100                            // 000000006960: D0C6006A 0000C91D
	v_sub_i32 v29, 0, v29                                      // 000000006968: D29D001D 00023A80
	v_cndmask_b32_e32 v52, v52, v151, vcc                      // 000000006970: 00692F34
	v_cmp_ge_i32_e64 vcc, v29, s99                             // 000000006974: D0C6006A 0000C71D
	s_nop 1                                                    // 00000000697C: BF800001
	v_cndmask_b32_e32 v52, v52, v151, vcc                      // 000000006980: 00692F34
	v_and_b32_e32 v28, 15, v0                                  // 000000006984: 2638008F
	v_add_u32_e32 v28, s62, v28                                // 000000006988: 6838383E
	v_lshrrev_b32_e32 v29, 4, v0                               // 00000000698C: 203A0084
	v_lshlrev_b32_e32 v29, 2, v29                              // 000000006990: 243A3A82
	v_add_i32 v29, 1, v29                                      // 000000006994: D29C001D 00023A81
	v_add_i32 v29, s59, v29                                    // 00000000699C: D29C001D 00023A3B
	v_sub_i32 v29, v29, v28                                    // 0000000069A4: D29D001D 0002391D
	v_cmp_ge_i32_e64 vcc, v29, s100                            // 0000000069AC: D0C6006A 0000C91D
	v_sub_i32 v29, 0, v29                                      // 0000000069B4: D29D001D 00023A80
	v_cndmask_b32_e32 v53, v53, v151, vcc                      // 0000000069BC: 006B2F35
	v_cmp_ge_i32_e64 vcc, v29, s99                             // 0000000069C0: D0C6006A 0000C71D
	s_nop 1                                                    // 0000000069C8: BF800001
	v_cndmask_b32_e32 v53, v53, v151, vcc                      // 0000000069CC: 006B2F35
	v_and_b32_e32 v28, 15, v0                                  // 0000000069D0: 2638008F
	v_add_u32_e32 v28, s62, v28                                // 0000000069D4: 6838383E
	v_lshrrev_b32_e32 v29, 4, v0                               // 0000000069D8: 203A0084
	v_lshlrev_b32_e32 v29, 2, v29                              // 0000000069DC: 243A3A82
	v_add_i32 v29, 2, v29                                      // 0000000069E0: D29C001D 00023A82
	v_add_i32 v29, s59, v29                                    // 0000000069E8: D29C001D 00023A3B
	v_sub_i32 v29, v29, v28                                    // 0000000069F0: D29D001D 0002391D
	v_cmp_ge_i32_e64 vcc, v29, s100                            // 0000000069F8: D0C6006A 0000C91D
	v_sub_i32 v29, 0, v29                                      // 000000006A00: D29D001D 00023A80
	v_cndmask_b32_e32 v54, v54, v151, vcc                      // 000000006A08: 006D2F36
	v_cmp_ge_i32_e64 vcc, v29, s99                             // 000000006A0C: D0C6006A 0000C71D
	s_nop 1                                                    // 000000006A14: BF800001
	v_cndmask_b32_e32 v54, v54, v151, vcc                      // 000000006A18: 006D2F36
	v_and_b32_e32 v28, 15, v0                                  // 000000006A1C: 2638008F
	v_add_u32_e32 v28, s62, v28                                // 000000006A20: 6838383E
	v_lshrrev_b32_e32 v29, 4, v0                               // 000000006A24: 203A0084
	v_lshlrev_b32_e32 v29, 2, v29                              // 000000006A28: 243A3A82
	v_add_i32 v29, 3, v29                                      // 000000006A2C: D29C001D 00023A83
	v_add_i32 v29, s59, v29                                    // 000000006A34: D29C001D 00023A3B
	v_sub_i32 v29, v29, v28                                    // 000000006A3C: D29D001D 0002391D
	v_cmp_ge_i32_e64 vcc, v29, s100                            // 000000006A44: D0C6006A 0000C91D
	v_sub_i32 v29, 0, v29                                      // 000000006A4C: D29D001D 00023A80
	v_cndmask_b32_e32 v55, v55, v151, vcc                      // 000000006A54: 006F2F37
	v_cmp_ge_i32_e64 vcc, v29, s99                             // 000000006A58: D0C6006A 0000C71D
	s_nop 1                                                    // 000000006A60: BF800001
	v_cndmask_b32_e32 v55, v55, v151, vcc                      // 000000006A64: 006F2F37
	s_branch label_0A65                                        // 000000006A68: BF82FF4A

0000000000006a6c <label_0B1C>:
	v_mov_b32_e32 v52, v151                                    // 000000006A6C: 7E680397
	v_mov_b32_e32 v53, v151                                    // 000000006A70: 7E6A0397
	v_mov_b32_e32 v54, v151                                    // 000000006A74: 7E6C0397
	v_mov_b32_e32 v55, v151                                    // 000000006A78: 7E6E0397
	s_branch label_0A65                                        // 000000006A7C: BF82FF45

0000000000006a80 <label_0B21>:
	v_and_b32_e32 v28, 15, v0                                  // 000000006A80: 2638008F
	v_add_u32_e32 v28, s62, v28                                // 000000006A84: 6838383E
	v_lshrrev_b32_e32 v29, 4, v0                               // 000000006A88: 203A0084
	v_lshlrev_b32_e32 v29, 2, v29                              // 000000006A8C: 243A3A82
	v_add_i32 v29, 0, v29                                      // 000000006A90: D29C001D 00023A80
	v_add_i32 v29, s59, v29                                    // 000000006A98: D29C001D 00023A3B
	v_sub_i32 v29, v29, v28                                    // 000000006AA0: D29D001D 0002391D
	v_cmp_ge_i32_e64 vcc, v29, s100                            // 000000006AA8: D0C6006A 0000C91D
	v_sub_i32 v29, 0, v29                                      // 000000006AB0: D29D001D 00023A80
	v_cndmask_b32_e32 v56, v56, v151, vcc                      // 000000006AB8: 00712F38
	v_cmp_ge_i32_e64 vcc, v29, s99                             // 000000006ABC: D0C6006A 0000C71D
	s_nop 1                                                    // 000000006AC4: BF800001
	v_cndmask_b32_e32 v56, v56, v151, vcc                      // 000000006AC8: 00712F38
	v_and_b32_e32 v28, 15, v0                                  // 000000006ACC: 2638008F
	v_add_u32_e32 v28, s62, v28                                // 000000006AD0: 6838383E
	v_lshrrev_b32_e32 v29, 4, v0                               // 000000006AD4: 203A0084
	v_lshlrev_b32_e32 v29, 2, v29                              // 000000006AD8: 243A3A82
	v_add_i32 v29, 1, v29                                      // 000000006ADC: D29C001D 00023A81
	v_add_i32 v29, s59, v29                                    // 000000006AE4: D29C001D 00023A3B
	v_sub_i32 v29, v29, v28                                    // 000000006AEC: D29D001D 0002391D
	v_cmp_ge_i32_e64 vcc, v29, s100                            // 000000006AF4: D0C6006A 0000C91D
	v_sub_i32 v29, 0, v29                                      // 000000006AFC: D29D001D 00023A80
	v_cndmask_b32_e32 v57, v57, v151, vcc                      // 000000006B04: 00732F39
	v_cmp_ge_i32_e64 vcc, v29, s99                             // 000000006B08: D0C6006A 0000C71D
	s_nop 1                                                    // 000000006B10: BF800001
	v_cndmask_b32_e32 v57, v57, v151, vcc                      // 000000006B14: 00732F39
	v_and_b32_e32 v28, 15, v0                                  // 000000006B18: 2638008F
	v_add_u32_e32 v28, s62, v28                                // 000000006B1C: 6838383E
	v_lshrrev_b32_e32 v29, 4, v0                               // 000000006B20: 203A0084
	v_lshlrev_b32_e32 v29, 2, v29                              // 000000006B24: 243A3A82
	v_add_i32 v29, 2, v29                                      // 000000006B28: D29C001D 00023A82
	v_add_i32 v29, s59, v29                                    // 000000006B30: D29C001D 00023A3B
	v_sub_i32 v29, v29, v28                                    // 000000006B38: D29D001D 0002391D
	v_cmp_ge_i32_e64 vcc, v29, s100                            // 000000006B40: D0C6006A 0000C91D
	v_sub_i32 v29, 0, v29                                      // 000000006B48: D29D001D 00023A80
	v_cndmask_b32_e32 v58, v58, v151, vcc                      // 000000006B50: 00752F3A
	v_cmp_ge_i32_e64 vcc, v29, s99                             // 000000006B54: D0C6006A 0000C71D
	s_nop 1                                                    // 000000006B5C: BF800001
	v_cndmask_b32_e32 v58, v58, v151, vcc                      // 000000006B60: 00752F3A
	v_and_b32_e32 v28, 15, v0                                  // 000000006B64: 2638008F
	v_add_u32_e32 v28, s62, v28                                // 000000006B68: 6838383E
	v_lshrrev_b32_e32 v29, 4, v0                               // 000000006B6C: 203A0084
	v_lshlrev_b32_e32 v29, 2, v29                              // 000000006B70: 243A3A82
	v_add_i32 v29, 3, v29                                      // 000000006B74: D29C001D 00023A83
	v_add_i32 v29, s59, v29                                    // 000000006B7C: D29C001D 00023A3B
	v_sub_i32 v29, v29, v28                                    // 000000006B84: D29D001D 0002391D
	v_cmp_ge_i32_e64 vcc, v29, s100                            // 000000006B8C: D0C6006A 0000C91D
	v_sub_i32 v29, 0, v29                                      // 000000006B94: D29D001D 00023A80
	v_cndmask_b32_e32 v59, v59, v151, vcc                      // 000000006B9C: 00772F3B
	v_cmp_ge_i32_e64 vcc, v29, s99                             // 000000006BA0: D0C6006A 0000C71D
	s_nop 1                                                    // 000000006BA8: BF800001
	v_cndmask_b32_e32 v59, v59, v151, vcc                      // 000000006BAC: 00772F3B
	s_branch label_0B73                                        // 000000006BB0: BF820005

0000000000006bb4 <label_0B6E>:
	v_mov_b32_e32 v56, v151                                    // 000000006BB4: 7E700397
	v_mov_b32_e32 v57, v151                                    // 000000006BB8: 7E720397
	v_mov_b32_e32 v58, v151                                    // 000000006BBC: 7E740397
	v_mov_b32_e32 v59, v151                                    // 000000006BC0: 7E760397
	s_branch label_0B73                                        // 000000006BC4: BF820000

0000000000006bc8 <label_0B73>:
	s_cmp_lt_i32 s94, 0xc0                                     // 000000006BC8: BF04FF5E 000000C0
	s_cbranch_scc0 label_0BC8                                  // 000000006BD0: BF84004D
	s_cmp_le_i32 s94, 64                                       // 000000006BD4: BF05C05E
	s_cbranch_scc1 label_0B7F                                  // 000000006BD8: BF850007
	s_cmp_le_i32 s94, 0x80                                     // 000000006BDC: BF05FF5E 00000080
	s_cbranch_scc1 label_0B97                                  // 000000006BE4: BF850017
	s_cmp_lt_i32 s94, 0xc0                                     // 000000006BE8: BF04FF5E 000000C0
	s_cbranch_scc1 label_0BAF                                  // 000000006BF0: BF85002C
	s_branch label_0BC8                                        // 000000006BF4: BF820044

0000000000006bf8 <label_0B7F>:
	s_mov_b32 s60, 0                                           // 000000006BF8: BEBC0080
	v_and_b32_e32 v28, 15, v0                                  // 000000006BFC: 2638008F
	v_add_u32_e64 v28, v28, s60                                // 000000006C00: D134001C 0000791C
	v_mul_i32_i24_e64 v29, s46, 16                             // 000000006C08: D106001D 0001202E
	v_add_u32_e32 v28, v28, v29                                // 000000006C10: 68383B1C
	v_cmp_lt_u32_e64 s[60:61], v28, s94                        // 000000006C14: D0C9003C 0000BD1C
	s_nop 1                                                    // 000000006C1C: BF800001
	v_cndmask_b32_e64 v48, v151, v48, s[60:61]                 // 000000006C20: D1000030 00F26197
	v_cndmask_b32_e64 v49, v151, v49, s[60:61]                 // 000000006C28: D1000031 00F26397
	v_cndmask_b32_e64 v50, v151, v50, s[60:61]                 // 000000006C30: D1000032 00F26597
	v_cndmask_b32_e64 v51, v151, v51, s[60:61]                 // 000000006C38: D1000033 00F26797
	s_branch label_0BAA                                        // 000000006C40: BF820013

0000000000006c44 <label_0B97>:
	s_mov_b32 s60, 64                                          // 000000006C44: BEBC00C0
	v_and_b32_e32 v28, 15, v0                                  // 000000006C48: 2638008F
	v_add_u32_e64 v28, v28, s60                                // 000000006C4C: D134001C 0000791C
	v_mul_i32_i24_e64 v29, s46, 16                             // 000000006C54: D106001D 0001202E
	v_add_u32_e32 v28, v28, v29                                // 000000006C5C: 68383B1C
	v_cmp_lt_u32_e64 s[60:61], v28, s94                        // 000000006C60: D0C9003C 0000BD1C
	s_nop 1                                                    // 000000006C68: BF800001
	v_cndmask_b32_e64 v52, v151, v52, s[60:61]                 // 000000006C6C: D1000034 00F26997
	v_cndmask_b32_e64 v53, v151, v53, s[60:61]                 // 000000006C74: D1000035 00F26B97
	v_cndmask_b32_e64 v54, v151, v54, s[60:61]                 // 000000006C7C: D1000036 00F26D97
	v_cndmask_b32_e64 v55, v151, v55, s[60:61]                 // 000000006C84: D1000037 00F26F97
	s_branch label_0BC3                                        // 000000006C8C: BF820019

0000000000006c90 <label_0BAA>:
	v_mov_b32_e32 v52, v151                                    // 000000006C90: 7E680397
	v_mov_b32_e32 v53, v151                                    // 000000006C94: 7E6A0397
	v_mov_b32_e32 v54, v151                                    // 000000006C98: 7E6C0397
	v_mov_b32_e32 v55, v151                                    // 000000006C9C: 7E6E0397
	s_branch label_0BC3                                        // 000000006CA0: BF820014

0000000000006ca4 <label_0BAF>:
	s_mov_b32 s60, 0x80                                        // 000000006CA4: BEBC00FF 00000080
	v_and_b32_e32 v28, 15, v0                                  // 000000006CAC: 2638008F
	v_add_u32_e64 v28, v28, s60                                // 000000006CB0: D134001C 0000791C
	v_mul_i32_i24_e64 v29, s46, 16                             // 000000006CB8: D106001D 0001202E
	v_add_u32_e32 v28, v28, v29                                // 000000006CC0: 68383B1C
	v_cmp_lt_u32_e64 s[60:61], v28, s94                        // 000000006CC4: D0C9003C 0000BD1C
	s_nop 1                                                    // 000000006CCC: BF800001
	v_cndmask_b32_e64 v56, v151, v56, s[60:61]                 // 000000006CD0: D1000038 00F27197
	v_cndmask_b32_e64 v57, v151, v57, s[60:61]                 // 000000006CD8: D1000039 00F27397
	v_cndmask_b32_e64 v58, v151, v58, s[60:61]                 // 000000006CE0: D100003A 00F27597
	v_cndmask_b32_e64 v59, v151, v59, s[60:61]                 // 000000006CE8: D100003B 00F27797
	s_branch label_0BC8                                        // 000000006CF0: BF820005

0000000000006cf4 <label_0BC3>:
	v_mov_b32_e32 v56, v151                                    // 000000006CF4: 7E700397
	v_mov_b32_e32 v57, v151                                    // 000000006CF8: 7E720397
	v_mov_b32_e32 v58, v151                                    // 000000006CFC: 7E740397
	v_mov_b32_e32 v59, v151                                    // 000000006D00: 7E760397
	s_branch label_0BC8                                        // 000000006D04: BF820000

0000000000006d08 <label_0BC8>:
	s_waitcnt lgkmcnt(8)                                       // 000000006D08: BF8CC87F
	s_barrier                                                  // 000000006D0C: BF8A0000
	v_mfma_f32_16x16x16_bf16 v[72:75], v[92:93], a[96:97], 0   // 000000006D10: D3E10048 1202C15C
	ds_read_b128 a[144:147], v12 offset:4352                   // 000000006D18: DBFE1100 9000000C
	ds_read_b128 a[148:151], v12 offset:4864                   // 000000006D20: DBFE1300 9400000C
	v_mfma_f32_16x16x16_bf16 v[72:75], v[94:95], a[98:99], v[72:75]// 000000006D28: D3E10048 1522C55E
	v_fma_f32 v48, v48, s57, -v124                             // 000000006D30: D1CB0030 85F07330
	v_fma_f32 v49, v49, s57, -v125                             // 000000006D38: D1CB0031 85F47331
	v_fma_f32 v50, v50, s57, -v126                             // 000000006D40: D1CB0032 85F87332
	v_mfma_f32_16x16x16_bf16 v[72:75], v[96:97], a[100:101], v[72:75]// 000000006D48: D3E10048 1522C960
	v_fma_f32 v51, v51, s57, -v127                             // 000000006D50: D1CB0033 85FC7333
	v_fma_f32 v52, v52, s57, -v124                             // 000000006D58: D1CB0034 85F07334
	v_fma_f32 v53, v53, s57, -v125                             // 000000006D60: D1CB0035 85F47335
	v_mfma_f32_16x16x16_bf16 v[72:75], v[98:99], a[102:103], v[72:75]// 000000006D68: D3E10048 1522CD62
	v_fma_f32 v54, v54, s57, -v126                             // 000000006D70: D1CB0036 85F87336
	v_fma_f32 v55, v55, s57, -v127                             // 000000006D78: D1CB0037 85FC7337
	v_fma_f32 v56, v56, s57, -v124                             // 000000006D80: D1CB0038 85F07338
	v_mfma_f32_16x16x16_bf16 v[72:75], v[100:101], a[104:105], v[72:75]// 000000006D88: D3E10048 1522D164
	ds_read_b128 a[152:155], v12 offset:6528                   // 000000006D90: DBFE1980 9800000C
	ds_read_b128 a[156:159], v12 offset:7040                   // 000000006D98: DBFE1B80 9C00000C
	v_mfma_f32_16x16x16_bf16 v[72:75], v[102:103], a[106:107], v[72:75]// 000000006DA0: D3E10048 1522D566
	v_fma_f32 v57, v57, s57, -v125                             // 000000006DA8: D1CB0039 85F47339
	v_fma_f32 v58, v58, s57, -v126                             // 000000006DB0: D1CB003A 85F8733A
	v_fma_f32 v59, v59, s57, -v127                             // 000000006DB8: D1CB003B 85FC733B
	v_mfma_f32_16x16x16_bf16 v[72:75], v[104:105], a[108:109], v[72:75]// 000000006DC0: D3E10048 1522D968
	v_exp_f32_e32 v48, v48                                     // 000000006DC8: 7E604130
	v_mfma_f32_16x16x16_bf16 v[72:75], v[106:107], a[110:111], v[72:75]// 000000006DCC: D3E10048 1522DD6A
	v_exp_f32_e32 v49, v49                                     // 000000006DD4: 7E624131
	v_mfma_f32_16x16x16_bf16 v[76:79], v[92:93], a[112:113], 0 // 000000006DD8: D3E1004C 1202E15C
	ds_read_b64 v[136:137], v19 offset:24320                   // 000000006DE0: D8EC5F00 88000013
	ds_read_b64 v[138:139], v19 offset:26368                   // 000000006DE8: D8EC6700 8A000013
	v_mfma_f32_16x16x16_bf16 v[76:79], v[94:95], a[114:115], v[76:79]// 000000006DF0: D3E1004C 1532E55E
	v_exp_f32_e32 v50, v50                                     // 000000006DF8: 7E644132
	v_mfma_f32_16x16x16_bf16 v[76:79], v[96:97], a[116:117], v[76:79]// 000000006DFC: D3E1004C 1532E960
	ds_read_b64 v[140:141], v19 offset:28416                   // 000000006E04: D8EC6F00 8C000013
	ds_read_b64 v[142:143], v19 offset:30464                   // 000000006E0C: D8EC7700 8E000013
	v_mfma_f32_16x16x16_bf16 v[76:79], v[98:99], a[118:119], v[76:79]// 000000006E14: D3E1004C 1532ED62
	v_exp_f32_e32 v51, v51                                     // 000000006E1C: 7E664133
	v_mfma_f32_16x16x16_bf16 v[76:79], v[100:101], a[120:121], v[76:79]// 000000006E20: D3E1004C 1532F164
	v_exp_f32_e32 v52, v52                                     // 000000006E28: 7E684134
	v_mfma_f32_16x16x16_bf16 v[76:79], v[102:103], a[122:123], v[76:79]// 000000006E2C: D3E1004C 1532F566
	v_exp_f32_e32 v53, v53                                     // 000000006E34: 7E6A4135
	v_mfma_f32_16x16x16_bf16 v[76:79], v[104:105], a[124:125], v[76:79]// 000000006E38: D3E1004C 1532F968
	v_exp_f32_e32 v54, v54                                     // 000000006E40: 7E6C4136
	v_mfma_f32_16x16x16_bf16 v[76:79], v[106:107], a[126:127], v[76:79]// 000000006E44: D3E1004C 1532FD6A
	v_exp_f32_e32 v55, v55                                     // 000000006E4C: 7E6E4137
	v_mfma_f32_16x16x16_bf16 v[80:83], v[92:93], a[128:129], 0 // 000000006E50: D3E10050 1203015C
	v_exp_f32_e32 v56, v56                                     // 000000006E58: 7E704138
	v_mfma_f32_16x16x16_bf16 v[80:83], v[94:95], a[130:131], v[80:83]// 000000006E5C: D3E10050 1543055E
	v_exp_f32_e32 v57, v57                                     // 000000006E64: 7E724139
	v_mfma_f32_16x16x16_bf16 v[80:83], v[96:97], a[132:133], v[80:83]// 000000006E68: D3E10050 15430960
	v_exp_f32_e32 v58, v58                                     // 000000006E70: 7E74413A
	v_mfma_f32_16x16x16_bf16 v[80:83], v[98:99], a[134:135], v[80:83]// 000000006E74: D3E10050 15430D62
	v_exp_f32_e32 v59, v59                                     // 000000006E7C: 7E76413B
	v_mfma_f32_16x16x16_bf16 v[80:83], v[100:101], a[136:137], v[80:83]// 000000006E80: D3E10050 15431164
	v_perm_b32 v144, v49, v48, s64                             // 000000006E88: D1ED0090 01026131
	v_perm_b32 v145, v51, v50, s64                             // 000000006E90: D1ED0091 01026533
	v_perm_b32 v146, v53, v52, s64                             // 000000006E98: D1ED0092 01026935
	v_mfma_f32_16x16x16_bf16 v[80:83], v[102:103], a[138:139], v[80:83]// 000000006EA0: D3E10050 15431566
	v_perm_b32 v147, v55, v54, s64                             // 000000006EA8: D1ED0093 01026D37
	v_perm_b32 v148, v57, v56, s64                             // 000000006EB0: D1ED0094 01027139
	v_perm_b32 v149, v59, v58, s64                             // 000000006EB8: D1ED0095 0102753B
	v_mfma_f32_16x16x16_bf16 v[80:83], v[104:105], a[140:141], v[80:83]// 000000006EC0: D3E10050 15431968
	v_add_u32_e32 v7, s66, v7                                  // 000000006EC8: 680E0E42
	v_add_u32_e32 v8, s66, v8                                  // 000000006ECC: 68101042
	v_mfma_f32_16x16x16_bf16 v[80:83], v[106:107], a[142:143], v[80:83]// 000000006ED0: D3E10050 15431D6A
	s_waitcnt lgkmcnt(0)                                       // 000000006ED8: BF8CC07F
	s_barrier                                                  // 000000006EDC: BF8A0000
	v_mfma_f32_16x16x16_bf16 v[152:155], v[108:109], v[144:145], v[152:155]// 000000006EE0: D3E10098 0663216C
	v_subrev_f32_dpp v72, v150, v72 quad_perm:[0,0,0,0] row_mask:0xf bank_mask:0xf// 000000006EE8: 069090FA FF000096
	v_subrev_f32_dpp v73, v150, v73 quad_perm:[1,1,1,1] row_mask:0xf bank_mask:0xf// 000000006EF0: 069292FA FF005596
	v_subrev_f32_dpp v74, v150, v74 quad_perm:[2,2,2,2] row_mask:0xf bank_mask:0xf// 000000006EF8: 069494FA FF00AA96
	v_mfma_f32_16x16x16_bf16 v[156:159], v[110:111], v[144:145], v[156:159]// 000000006F00: D3E1009C 0673216E
	v_subrev_f32_dpp v75, v150, v75 quad_perm:[3,3,3,3] row_mask:0xf bank_mask:0xf// 000000006F08: 069696FA FF00FF96
	v_subrev_f32_dpp v76, v150, v76 quad_perm:[0,0,0,0] row_mask:0xf bank_mask:0xf// 000000006F10: 069898FA FF000096
	v_subrev_f32_dpp v77, v150, v77 quad_perm:[1,1,1,1] row_mask:0xf bank_mask:0xf// 000000006F18: 069A9AFA FF005596
	v_mfma_f32_16x16x16_bf16 v[160:163], v[112:113], v[144:145], v[160:163]// 000000006F20: D3E100A0 06832170
	v_mul_f32_e32 v72, v48, v72                                // 000000006F28: 0A909130
	v_mul_f32_e32 v73, v49, v73                                // 000000006F2C: 0A929331
	v_mul_f32_e32 v74, v50, v74                                // 000000006F30: 0A949532
	v_mfma_f32_16x16x16_bf16 v[164:167], v[114:115], v[144:145], v[164:167]// 000000006F34: D3E100A4 06932172
	v_mul_f32_e32 v75, v51, v75                                // 000000006F3C: 0A969733
	v_mul_f32_e32 v76, v52, v76                                // 000000006F40: 0A989934
	v_mul_f32_e32 v77, v53, v77                                // 000000006F44: 0A9A9B35
	v_mfma_f32_16x16x16_bf16 v[168:171], v[116:117], v[144:145], v[168:171]// 000000006F48: D3E100A8 06A32174
	v_perm_b32 v72, v73, v72, s64                              // 000000006F50: D1ED0048 01029149
	v_perm_b32 v73, v75, v74, s64                              // 000000006F58: D1ED0049 0102954B
	v_perm_b32 v74, v77, v76, s64                              // 000000006F60: D1ED004A 0102994D
	v_mfma_f32_16x16x16_bf16 v[172:175], v[118:119], v[144:145], v[172:175]// 000000006F68: D3E100AC 06B32176
	v_mov_b32_dpp v16, v72 quad_perm:[1,0,3,2] row_mask:0xf bank_mask:0xf// 000000006F70: 7E2002FA FF00B148
	v_perm_b32 v48, v16, v72, v15                              // 000000006F78: D1ED0030 043E9110
	v_mov_b32_dpp v16, v73 quad_perm:[1,0,3,2] row_mask:0xf bank_mask:0xf// 000000006F80: 7E2002FA FF00B149
	v_mfma_f32_16x16x16_bf16 v[176:179], v[120:121], v[144:145], v[176:179]// 000000006F88: D3E100B0 06C32178
	v_perm_b32 v49, v16, v73, v15                              // 000000006F90: D1ED0031 043E9310
	v_mov_b32_dpp v16, v74 quad_perm:[1,0,3,2] row_mask:0xf bank_mask:0xf// 000000006F98: 7E2002FA FF00B14A
	v_perm_b32 v50, v16, v74, v15                              // 000000006FA0: D1ED0032 043E9510
	v_mfma_f32_16x16x16_bf16 v[180:183], v[122:123], v[144:145], v[180:183]// 000000006FA8: D3E100B4 06D3217A
	ds_write_b32 v18, v48 offset:17408                         // 000000006FB0: D81A4400 00003012
	v_mfma_f32_16x16x16_bf16 v[184:187], v[108:109], v[146:147], v[184:187]// 000000006FB8: D3E100B8 06E3256C
	v_subrev_f32_dpp v78, v150, v78 quad_perm:[2,2,2,2] row_mask:0xf bank_mask:0xf// 000000006FC0: 069C9CFA FF00AA96
	v_subrev_f32_dpp v79, v150, v79 quad_perm:[3,3,3,3] row_mask:0xf bank_mask:0xf// 000000006FC8: 069E9EFA FF00FF96
	v_subrev_f32_dpp v80, v150, v80 quad_perm:[0,0,0,0] row_mask:0xf bank_mask:0xf// 000000006FD0: 06A0A0FA FF000096
	v_mfma_f32_16x16x16_bf16 v[188:191], v[110:111], v[146:147], v[188:191]// 000000006FD8: D3E100BC 06F3256E
	ds_write_b32 v18, v49 offset:17952                         // 000000006FE0: D81A4620 00003112
	v_mfma_f32_16x16x16_bf16 v[192:195], v[112:113], v[146:147], v[192:195]// 000000006FE8: D3E100C0 07032570
	v_subrev_f32_dpp v81, v150, v81 quad_perm:[1,1,1,1] row_mask:0xf bank_mask:0xf// 000000006FF0: 06A2A2FA FF005596
	v_subrev_f32_dpp v82, v150, v82 quad_perm:[2,2,2,2] row_mask:0xf bank_mask:0xf// 000000006FF8: 06A4A4FA FF00AA96
	v_subrev_f32_dpp v83, v150, v83 quad_perm:[3,3,3,3] row_mask:0xf bank_mask:0xf// 000000007000: 06A6A6FA FF00FF96
	v_mfma_f32_16x16x16_bf16 v[196:199], v[114:115], v[146:147], v[196:199]// 000000007008: D3E100C4 07132572
	ds_write_b32 v18, v50 offset:19712                         // 000000007010: D81A4D00 00003212
	v_mfma_f32_16x16x16_bf16 v[200:203], v[116:117], v[146:147], v[200:203]// 000000007018: D3E100C8 07232574
	v_mul_f32_e32 v78, v54, v78                                // 000000007020: 0A9C9D36
	v_mul_f32_e32 v79, v55, v79                                // 000000007024: 0A9E9F37
	v_mul_f32_e32 v80, v56, v80                                // 000000007028: 0AA0A138
	v_mfma_f32_16x16x16_bf16 v[204:207], v[118:119], v[146:147], v[204:207]// 00000000702C: D3E100CC 07332576
	v_mul_f32_e32 v81, v57, v81                                // 000000007034: 0AA2A339
	v_mul_f32_e32 v82, v58, v82                                // 000000007038: 0AA4A53A
	v_mul_f32_e32 v83, v59, v83                                // 00000000703C: 0AA6A73B
	v_mfma_f32_16x16x16_bf16 v[208:211], v[120:121], v[146:147], v[208:211]// 000000007040: D3E100D0 07432578
	v_perm_b32 v75, v79, v78, s64                              // 000000007048: D1ED004B 01029D4F
	v_perm_b32 v76, v81, v80, s64                              // 000000007050: D1ED004C 0102A151
	v_perm_b32 v77, v83, v82, s64                              // 000000007058: D1ED004D 0102A553
	v_mfma_f32_16x16x16_bf16 v[212:215], v[122:123], v[146:147], v[212:215]// 000000007060: D3E100D4 0753257A
	v_mov_b32_dpp v16, v75 quad_perm:[1,0,3,2] row_mask:0xf bank_mask:0xf// 000000007068: 7E2002FA FF00B14B
	v_perm_b32 v51, v16, v75, v15                              // 000000007070: D1ED0033 043E9710
	v_mov_b32_dpp v16, v76 quad_perm:[1,0,3,2] row_mask:0xf bank_mask:0xf// 000000007078: 7E2002FA FF00B14C
	v_mfma_f32_16x16x16_bf16 v[216:219], v[108:109], v[148:149], v[216:219]// 000000007080: D3E100D8 0763296C
	v_perm_b32 v52, v16, v76, v15                              // 000000007088: D1ED0034 043E9910
	v_mov_b32_dpp v16, v77 quad_perm:[1,0,3,2] row_mask:0xf bank_mask:0xf// 000000007090: 7E2002FA FF00B14D
	v_perm_b32 v53, v16, v77, v15                              // 000000007098: D1ED0035 043E9B10
	v_mfma_f32_16x16x16_bf16 v[220:223], v[110:111], v[148:149], v[220:223]// 0000000070A0: D3E100DC 0773296E
	ds_write_b32 v18, v51 offset:20256                         // 0000000070A8: D81A4F20 00003312
	v_mfma_f32_16x16x16_bf16 v[224:227], v[112:113], v[148:149], v[224:227]// 0000000070B0: D3E100E0 07832970
	v_mfma_f32_16x16x16_bf16 v[228:231], v[114:115], v[148:149], v[228:231]// 0000000070B8: D3E100E4 07932972
	ds_write_b32 v18, v52 offset:22016                         // 0000000070C0: D81A5600 00003412
	ds_write_b32 v18, v53 offset:22560                         // 0000000070C8: D81A5820 00003512
	v_mfma_f32_16x16x16_bf16 v[232:235], v[116:117], v[148:149], v[232:235]// 0000000070D0: D3E100E8 07A32974
	v_mfma_f32_16x16x16_bf16 v[236:239], v[118:119], v[148:149], v[236:239]// 0000000070D8: D3E100EC 07B32976
	ds_write_b32 v13, v84 offset:4352                          // 0000000070E0: D81A1100 0000540D
	ds_write_b32 v13, v85 offset:5408                          // 0000000070E8: D81A1520 0000550D
	v_mfma_f32_16x16x16_bf16 v[240:243], v[120:121], v[148:149], v[240:243]// 0000000070F0: D3E100F0 07C32978
	s_nop 0                                                    // 0000000070F8: BF800000
	s_nop 0                                                    // 0000000070FC: BF800000
	s_nop 0                                                    // 000000007100: BF800000
	v_mfma_f32_16x16x16_bf16 v[244:247], v[122:123], v[148:149], v[244:247]// 000000007104: D3E100F4 07D3297A
	ds_write_b32 v13, v86 offset:4480                          // 00000000710C: D81A1180 0000560D
	ds_write_b32 v13, v87 offset:5536                          // 000000007114: D81A15A0 0000570D
	s_barrier                                                  // 00000000711C: BF8A0000
	v_mfma_f32_16x16x16_bf16 a[160:163], a[144:145], v[72:73], a[160:163]// 000000007120: D3E180A0 0E829190
	buffer_atomic_add_f32 v136, v7, s[32:35], 0 offen          // 000000007128: E1341000 80088807
	v_mfma_f32_16x16x16_bf16 a[164:167], a[146:147], v[72:73], a[164:167]// 000000007130: D3E180A4 0E929192
	ds_read_b32 v124, v21 offset:51200                         // 000000007138: D86CC800 7C000015
	ds_read_b32 v150, v21 offset:51456                         // 000000007140: D86CC900 96000015
	v_mfma_f32_16x16x16_bf16 a[168:171], a[148:149], v[72:73], a[168:171]// 000000007148: D3E180A8 0EA29194
	s_waitcnt lgkmcnt(6)                                       // 000000007150: BF8CC67F
	s_barrier                                                  // 000000007154: BF8A0000
	v_mfma_f32_16x16x16_bf16 a[172:175], a[150:151], v[72:73], a[172:175]// 000000007158: D3E180AC 0EB29196
	ds_read_b128 v[48:51], v17 offset:17408                    // 000000007160: D9FE4400 30000011
	v_mfma_f32_16x16x16_bf16 a[176:179], a[152:153], v[72:73], a[176:179]// 000000007168: D3E180B0 0EC29198
	v_mfma_f32_16x16x16_bf16 a[180:183], a[154:155], v[72:73], a[180:183]// 000000007170: D3E180B4 0ED2919A
	ds_read_b128 v[52:55], v17 offset:18560                    // 000000007178: D9FE4880 34000011
	v_mfma_f32_16x16x16_bf16 a[184:187], a[156:157], v[72:73], a[184:187]// 000000007180: D3E180B8 0EE2919C
	buffer_atomic_add_f32 v137, v8, s[32:35], 0 offen          // 000000007188: E1341000 80088908
	v_mfma_f32_16x16x16_bf16 a[188:191], a[158:159], v[72:73], a[188:191]// 000000007190: D3E180BC 0EF2919E
	ds_read_b128 v[56:59], v17 offset:19712                    // 000000007198: D9FE4D00 38000011
	v_mfma_f32_16x16x16_bf16 a[192:195], a[144:145], v[74:75], a[192:195]// 0000000071A0: D3E180C0 0F029590
	v_mfma_f32_16x16x16_bf16 a[196:199], a[146:147], v[74:75], a[196:199]// 0000000071A8: D3E180C4 0F129592
	ds_read_b128 v[60:63], v17 offset:20864                    // 0000000071B0: D9FE5180 3C000011
	v_mfma_f32_16x16x16_bf16 a[200:203], a[148:149], v[74:75], a[200:203]// 0000000071B8: D3E180C8 0F229594
	v_mfma_f32_16x16x16_bf16 a[204:207], a[150:151], v[74:75], a[204:207]// 0000000071C0: D3E180CC 0F329596
	ds_read_b128 v[64:67], v17 offset:22016                    // 0000000071C8: D9FE5600 40000011
	v_mfma_f32_16x16x16_bf16 a[208:211], a[152:153], v[74:75], a[208:211]// 0000000071D0: D3E180D0 0F429598
	buffer_atomic_add_f32 v138, v7, s[32:35], 0 offen offset:128// 0000000071D8: E1341080 80088A07
	v_mfma_f32_16x16x16_bf16 a[212:215], a[154:155], v[74:75], a[212:215]// 0000000071E0: D3E180D4 0F52959A
	ds_read_b128 v[68:71], v17 offset:23168                    // 0000000071E8: D9FE5A80 44000011
	v_mfma_f32_16x16x16_bf16 a[216:219], a[156:157], v[74:75], a[216:219]// 0000000071F0: D3E180D8 0F62959C
	v_mfma_f32_16x16x16_bf16 a[220:223], a[158:159], v[74:75], a[220:223]// 0000000071F8: D3E180DC 0F72959E
	ds_write_b32 v13, v88 offset:13056                         // 000000007200: D81A3300 0000580D
	v_mfma_f32_16x16x16_bf16 a[224:227], a[144:145], v[76:77], a[224:227]// 000000007208: D3E180E0 0F829990
	v_mfma_f32_16x16x16_bf16 a[228:231], a[146:147], v[76:77], a[228:231]// 000000007210: D3E180E4 0F929992
	ds_write_b32 v13, v89 offset:14112                         // 000000007218: D81A3720 0000590D
	v_mfma_f32_16x16x16_bf16 a[232:235], a[148:149], v[76:77], a[232:235]// 000000007220: D3E180E8 0FA29994
	buffer_atomic_add_f32 v139, v8, s[32:35], 0 offen offset:128// 000000007228: E1341080 80088B08
	v_mfma_f32_16x16x16_bf16 a[236:239], a[150:151], v[76:77], a[236:239]// 000000007230: D3E180EC 0FB29996
	ds_write_b32 v13, v90 offset:13184                         // 000000007238: D81A3380 00005A0D
	v_mfma_f32_16x16x16_bf16 a[240:243], a[152:153], v[76:77], a[240:243]// 000000007240: D3E180F0 0FC29998
	v_mfma_f32_16x16x16_bf16 a[244:247], a[154:155], v[76:77], a[244:247]// 000000007248: D3E180F4 0FD2999A
	ds_write_b32 v13, v91 offset:14240                         // 000000007250: D81A37A0 00005B0D
	v_mfma_f32_16x16x16_bf16 a[248:251], a[156:157], v[76:77], a[248:251]// 000000007258: D3E180F8 0FE2999C
	v_mfma_f32_16x16x16_bf16 a[252:255], a[158:159], v[76:77], a[252:255]// 000000007260: D3E180FC 0FF2999E
	s_waitcnt vmcnt(8) lgkmcnt(4)                              // 000000007268: BF8C0478
	s_barrier                                                  // 00000000726C: BF8A0000
	v_mfma_f32_16x16x16_bf16 v[128:131], v[48:49], a[48:49], 0 // 000000007270: D3E10080 12026130
	v_cmp_eq_u32_e32 vcc, v124, v151                           // 000000007278: 7D952F7C
	v_mov_b32_e32 v28, 0                                       // 00000000727C: 7E380280
	v_cndmask_b32_e32 v124, v124, v28, vcc                     // 000000007280: 00F8397C
	v_mul_f32_e32 v124, s48, v124                              // 000000007284: 0AF8F830
	s_nop 0                                                    // 000000007288: BF800000
	v_mfma_f32_16x16x16_bf16 v[128:131], v[50:51], a[52:53], v[128:131]// 00000000728C: D3E10080 16026932
	ds_read_b128 a[144:147], v10                               // 000000007294: DBFE0000 9000000A
	v_mov_b32_e32 v36, 0                                       // 00000000729C: 7E480280
	s_mov_b64 exec, s[88:89]                                   // 0000000072A0: BEFE0158
	buffer_load_dword v36, v1, s[8:11], 0 idxen                // 0000000072A4: E0502000 80022401
	s_mov_b64 exec, s[86:87]                                   // 0000000072AC: BEFE0156
	v_mfma_f32_16x16x16_bf16 v[128:131], v[52:53], a[56:57], v[128:131]// 0000000072B0: D3E10080 16027134
	v_mfma_f32_16x16x16_bf16 v[128:131], v[54:55], a[60:61], v[128:131]// 0000000072B8: D3E10080 16027936
	ds_read_b128 a[148:151], v10 offset:512                    // 0000000072C0: DBFE0200 9400000A
	v_mov_b32_e32 v37, 0                                       // 0000000072C8: 7E4A0280
	s_mov_b64 exec, s[88:89]                                   // 0000000072CC: BEFE0158
	buffer_load_dword v37, v2, s[8:11], 0 idxen                // 0000000072D0: E0502000 80022502
	s_mov_b64 exec, s[86:87]                                   // 0000000072D8: BEFE0156
	v_mfma_f32_16x16x16_bf16 v[128:131], v[56:57], a[64:65], v[128:131]// 0000000072DC: D3E10080 16028138
	v_perm_b32 v84, v33, v32, s63                              // 0000000072E4: D1ED0054 00FE4121
	v_perm_b32 v85, v33, v32, s64                              // 0000000072EC: D1ED0055 01024121
	v_mfma_f32_16x16x16_bf16 v[128:131], v[58:59], a[68:69], v[128:131]// 0000000072F4: D3E10080 1602893A
	ds_read_b128 a[152:155], v10 offset:2176                   // 0000000072FC: DBFE0880 9800000A
	v_mov_b32_e32 v38, 0                                       // 000000007304: 7E4C0280
	s_mov_b64 exec, s[88:89]                                   // 000000007308: BEFE0158
	buffer_load_dword v38, v3, s[8:11], 0 idxen                // 00000000730C: E0502000 80022603
	s_mov_b64 exec, s[86:87]                                   // 000000007314: BEFE0156
	v_mfma_f32_16x16x16_bf16 v[128:131], v[60:61], a[72:73], v[128:131]// 000000007318: D3E10080 1602913C
	v_perm_b32 v86, v35, v34, s63                              // 000000007320: D1ED0056 00FE4523
	v_perm_b32 v87, v35, v34, s64                              // 000000007328: D1ED0057 01024523
	v_mfma_f32_16x16x16_bf16 v[128:131], v[62:63], a[76:77], v[128:131]// 000000007330: D3E10080 1602993E
	ds_read_b128 a[156:159], v10 offset:2688                   // 000000007338: DBFE0A80 9C00000A
	v_mov_b32_e32 v39, 0                                       // 000000007340: 7E4E0280
	s_mov_b64 exec, s[88:89]                                   // 000000007344: BEFE0158
	buffer_load_dword v39, v4, s[8:11], 0 idxen                // 000000007348: E0502000 80022704
	s_mov_b64 exec, s[86:87]                                   // 000000007350: BEFE0156
	v_mfma_f32_16x16x16_bf16 v[128:131], v[64:65], a[80:81], v[128:131]// 000000007354: D3E10080 1602A140
	v_perm_b32 v88, v41, v40, s63                              // 00000000735C: D1ED0058 00FE5129
	v_perm_b32 v89, v41, v40, s64                              // 000000007364: D1ED0059 01025129
	v_mfma_f32_16x16x16_bf16 v[128:131], v[66:67], a[84:85], v[128:131]// 00000000736C: D3E10080 1602A942
	ds_read_b128 v[92:95], v10 offset:8704                     // 000000007374: D9FE2200 5C00000A
	v_mov_b32_e32 v44, 0                                       // 00000000737C: 7E580280
	s_mov_b64 exec, s[88:89]                                   // 000000007380: BEFE0158
	buffer_load_dword v44, v252, s[20:23], 0 idxen             // 000000007384: E0502000 80052CFC
	s_mov_b64 exec, s[86:87]                                   // 00000000738C: BEFE0156
	v_mfma_f32_16x16x16_bf16 v[128:131], v[68:69], a[88:89], v[128:131]// 000000007390: D3E10080 1602B144
	v_perm_b32 v90, v43, v42, s63                              // 000000007398: D1ED005A 00FE552B
	v_perm_b32 v91, v43, v42, s64                              // 0000000073A0: D1ED005B 0102552B
	v_mfma_f32_16x16x16_bf16 v[128:131], v[70:71], a[92:93], v[128:131]// 0000000073A8: D3E10080 1602B946
	ds_read_b128 v[96:99], v10 offset:9216                     // 0000000073B0: D9FE2400 6000000A
	v_mov_b32_e32 v45, 0                                       // 0000000073B8: 7E5A0280
	s_mov_b64 exec, s[88:89]                                   // 0000000073BC: BEFE0158
	buffer_load_dword v45, v253, s[20:23], 0 idxen             // 0000000073C0: E0502000 80052DFD
	s_mov_b64 exec, s[86:87]                                   // 0000000073C8: BEFE0156
	v_mfma_f32_16x16x16_bf16 v[132:135], v[48:49], a[50:51], 0 // 0000000073CC: D3E10084 12026530
	v_mov_b32_dpp v127, v124 quad_perm:[3,3,3,3] row_mask:0xf bank_mask:0xf// 0000000073D4: 7EFE02FA FF00FF7C
	v_mov_b32_dpp v126, v124 quad_perm:[2,2,2,2] row_mask:0xf bank_mask:0xf// 0000000073DC: 7EFC02FA FF00AA7C
	v_mfma_f32_16x16x16_bf16 v[132:135], v[50:51], a[54:55], v[132:135]// 0000000073E4: D3E10084 16126D32
	ds_read_b128 v[100:103], v10 offset:10880                  // 0000000073EC: D9FE2A80 6400000A
	v_mov_b32_e32 v46, 0                                       // 0000000073F4: 7E5C0280
	s_mov_b64 exec, s[88:89]                                   // 0000000073F8: BEFE0158
	buffer_load_dword v46, v254, s[20:23], 0 idxen             // 0000000073FC: E0502000 80052EFE
	s_mov_b64 exec, s[86:87]                                   // 000000007404: BEFE0156
	v_mfma_f32_16x16x16_bf16 v[132:135], v[52:53], a[58:59], v[132:135]// 000000007408: D3E10084 16127534
	v_mov_b32_dpp v125, v124 quad_perm:[1,1,1,1] row_mask:0xf bank_mask:0xf// 000000007410: 7EFA02FA FF00557C
	v_mov_b32_dpp v124, v124 quad_perm:[0,0,0,0] row_mask:0xf bank_mask:0xf// 000000007418: 7EF802FA FF00007C
	s_add_u32 s60, 64, s59                                     // 000000007420: 803C3BC0
	v_mfma_f32_16x16x16_bf16 v[132:135], v[54:55], a[62:63], v[132:135]// 000000007424: D3E10084 16127D36
	ds_read_b128 v[104:107], v10 offset:11392                  // 00000000742C: D9FE2C80 6800000A
	v_mov_b32_e32 v47, 0                                       // 000000007434: 7E5E0280
	s_mov_b64 exec, s[88:89]                                   // 000000007438: BEFE0158
	buffer_load_dword v47, v255, s[20:23], 0 idxen             // 00000000743C: E0502000 80052FFF
	s_mov_b64 exec, s[86:87]                                   // 000000007444: BEFE0156
	v_mfma_f32_16x16x16_bf16 v[132:135], v[56:57], a[66:67], v[132:135]// 000000007448: D3E10084 16128538
	s_cmp_lt_u32 s60, s58                                      // 000000007450: BF0A3A3C
	s_cselect_b32 s68, s68, 0                                  // 000000007454: 85448044
	s_cselect_b32 s97, s97, 0                                  // 000000007458: 85618061
	s_cselect_b32 s69, s69, 0                                  // 00000000745C: 85458045
	v_mfma_f32_16x16x16_bf16 v[132:135], v[58:59], a[70:71], v[132:135]// 000000007460: D3E10084 16128D3A
	buffer_load_dword v9, s[24:27], 0 idxen lds                // 000000007468: E0512000 80060009
	v_mfma_f32_16x16x16_bf16 v[132:135], v[60:61], a[74:75], v[132:135]// 000000007470: D3E10084 1612953C
	v_add_u32_e32 v1, s68, v1                                  // 000000007478: 68020244
	v_add_u32_e32 v2, s68, v2                                  // 00000000747C: 68040444
	v_add_u32_e32 v3, s68, v3                                  // 000000007480: 68060644
	v_add_u32_e32 v4, s68, v4                                  // 000000007484: 68080844
	v_mfma_f32_16x16x16_bf16 v[132:135], v[62:63], a[78:79], v[132:135]// 000000007488: D3E10084 16129D3E
	v_add_u32_e32 v252, s97, v252                              // 000000007490: 69F9F861
	v_add_u32_e32 v253, s97, v253                              // 000000007494: 69FBFA61
	v_add_u32_e32 v254, s97, v254                              // 000000007498: 69FDFC61
	v_add_u32_e32 v255, s97, v255                              // 00000000749C: 69FFFE61
	v_mfma_f32_16x16x16_bf16 v[132:135], v[64:65], a[82:83], v[132:135]// 0000000074A0: D3E10084 1612A540
	s_mov_b32 m0, s76                                          // 0000000074A8: BEFC004C
	v_add_u32_e32 v9, s69, v9                                  // 0000000074AC: 68121245
	v_mfma_f32_16x16x16_bf16 v[132:135], v[66:67], a[86:87], v[132:135]// 0000000074B0: D3E10084 1612AD42
	s_cmp_ge_u32 s59, s101                                     // 0000000074B8: BF09653B
	s_cselect_b32 s66, s67, s66                                // 0000000074BC: 85424243
	v_mfma_f32_16x16x16_bf16 v[132:135], v[68:69], a[90:91], v[132:135]// 0000000074C0: D3E10084 1612B544
	s_addk_i32 s59, 0x10                                       // 0000000074C8: B73B0010
	s_nop 0                                                    // 0000000074CC: BF800000
	s_cmp_lt_i32 s59, s58                                      // 0000000074D0: BF043A3B
	v_mfma_f32_16x16x16_bf16 v[132:135], v[70:71], a[94:95], v[132:135]// 0000000074D4: D3E10084 1612BD46
	s_cbranch_scc0 label_11AE                                  // 0000000074DC: BF8403EA
	s_waitcnt lgkmcnt(0)                                       // 0000000074E0: BF8CC07F
	s_barrier                                                  // 0000000074E4: BF8A0000
	v_mfma_f32_16x16x16_bf16 v[48:51], a[144:145], a[0:1], 0   // 0000000074E8: D3E10030 1A020190
	ds_write_b32 v11, v40 offset:8704                          // 0000000074F0: D81A2200 0000280B
	ds_write_b32 v11, v41 offset:9760                          // 0000000074F8: D81A2620 0000290B
	v_mfma_f32_16x16x16_bf16 v[48:51], a[146:147], a[2:3], v[48:51]// 000000007500: D3E10030 1CC20592
	v_mul_f32_e32 v128, s47, v128                              // 000000007508: 0B01002F
	v_mul_f32_e32 v129, s47, v129                              // 00000000750C: 0B03022F
	v_mfma_f32_16x16x16_bf16 v[48:51], a[148:149], a[4:5], v[48:51]// 000000007510: D3E10030 1CC20994
	ds_write_b32 v11, v42 offset:8832                          // 000000007518: D81A2280 00002A0B
	ds_write_b32 v11, v43 offset:9888                          // 000000007520: D81A26A0 00002B0B
	v_mfma_f32_16x16x16_bf16 v[48:51], a[150:151], a[6:7], v[48:51]// 000000007528: D3E10030 1CC20D96
	v_mul_f32_e32 v130, s47, v130                              // 000000007530: 0B05042F
	v_mul_f32_e32 v131, s47, v131                              // 000000007534: 0B07062F
	v_mfma_f32_16x16x16_bf16 v[48:51], a[152:153], a[8:9], v[48:51]// 000000007538: D3E10030 1CC21198
	ds_write_b64 v20, v[128:129] offset:24320                  // 000000007540: D89A5F00 00008014
	v_mfma_f32_16x16x16_bf16 v[48:51], a[154:155], a[10:11], v[48:51]// 000000007548: D3E10030 1CC2159A
	v_mul_f32_e32 v132, s47, v132                              // 000000007550: 0B09082F
	v_mul_f32_e32 v133, s47, v133                              // 000000007554: 0B0B0A2F
	v_mfma_f32_16x16x16_bf16 v[48:51], a[156:157], a[12:13], v[48:51]// 000000007558: D3E10030 1CC2199C
	ds_write_b64 v20, v[130:131] offset:24832                  // 000000007560: D89A6100 00008214
	v_mfma_f32_16x16x16_bf16 v[48:51], a[158:159], a[14:15], v[48:51]// 000000007568: D3E10030 1CC21D9E
	v_mul_f32_e32 v134, s47, v134                              // 000000007570: 0B0D0C2F
	v_mul_f32_e32 v135, s47, v135                              // 000000007574: 0B0F0E2F
	v_mfma_f32_16x16x16_bf16 v[52:55], a[144:145], a[16:17], 0 // 000000007578: D3E10034 1A022190
	ds_write_b64 v20, v[132:133] offset:25344                  // 000000007580: D89A6300 00008414
	v_mfma_f32_16x16x16_bf16 v[52:55], a[146:147], a[18:19], v[52:55]// 000000007588: D3E10034 1CD22592
	buffer_atomic_add_f32 v140, v7, s[32:35], 0 offen offset:256// 000000007590: E1341100 80088C07
	v_mfma_f32_16x16x16_bf16 v[52:55], a[148:149], a[20:21], v[52:55]// 000000007598: D3E10034 1CD22994
	ds_write_b64 v20, v[134:135] offset:25856                  // 0000000075A0: D89A6500 00008614
	v_mfma_f32_16x16x16_bf16 v[52:55], a[150:151], a[22:23], v[52:55]// 0000000075A8: D3E10034 1CD22D96
	v_mfma_f32_16x16x16_bf16 v[52:55], a[152:153], a[24:25], v[52:55]// 0000000075B0: D3E10034 1CD23198
	ds_read_b128 v[108:111], v12 offset:13056                  // 0000000075B8: D9FE3300 6C00000C
	ds_write_b32 v11, v32                                      // 0000000075C0: D81A0000 0000200B
	v_mfma_f32_16x16x16_bf16 v[52:55], a[154:155], a[26:27], v[52:55]// 0000000075C8: D3E10034 1CD2359A
	buffer_atomic_add_f32 v141, v8, s[32:35], 0 offen offset:256// 0000000075D0: E1341100 80088D08
	v_mfma_f32_16x16x16_bf16 v[52:55], a[156:157], a[28:29], v[52:55]// 0000000075D8: D3E10034 1CD2399C
	v_mfma_f32_16x16x16_bf16 v[52:55], a[158:159], a[30:31], v[52:55]// 0000000075E0: D3E10034 1CD23D9E
	ds_read_b128 v[112:115], v12 offset:13568                  // 0000000075E8: D9FE3500 7000000C
	ds_write_b32 v11, v33 offset:1056                          // 0000000075F0: D81A0420 0000210B
	v_mfma_f32_16x16x16_bf16 v[56:59], a[144:145], a[32:33], 0 // 0000000075F8: D3E10038 1A024190
	buffer_atomic_add_f32 v142, v7, s[32:35], 0 offen offset:384// 000000007600: E1341180 80088E07
	v_mfma_f32_16x16x16_bf16 v[56:59], a[146:147], a[34:35], v[56:59]// 000000007608: D3E10038 1CE24592
	v_mfma_f32_16x16x16_bf16 v[56:59], a[148:149], a[36:37], v[56:59]// 000000007610: D3E10038 1CE24994
	ds_read_b128 v[116:119], v12 offset:15232                  // 000000007618: D9FE3B80 7400000C
	ds_write_b32 v11, v34 offset:128                           // 000000007620: D81A0080 0000220B
	v_mfma_f32_16x16x16_bf16 v[56:59], a[150:151], a[38:39], v[56:59]// 000000007628: D3E10038 1CE24D96
	v_mfma_f32_16x16x16_bf16 v[56:59], a[152:153], a[40:41], v[56:59]// 000000007630: D3E10038 1CE25198
	buffer_atomic_add_f32 v143, v8, s[32:35], 0 offen offset:384// 000000007638: E1341180 80088F08
	v_mfma_f32_16x16x16_bf16 v[56:59], a[154:155], a[42:43], v[56:59]// 000000007640: D3E10038 1CE2559A
	ds_read_b128 v[120:123], v12 offset:15744                  // 000000007648: D9FE3D80 7800000C
	ds_write_b32 v11, v35 offset:1184                          // 000000007650: D81A04A0 0000230B
	v_mfma_f32_16x16x16_bf16 v[56:59], a[156:157], a[44:45], v[56:59]// 000000007658: D3E10038 1CE2599C
	v_mfma_f32_16x16x16_bf16 v[56:59], a[158:159], a[46:47], v[56:59]// 000000007660: D3E10038 1CE25D9E
	s_add_i32 s82, s59, s99                                    // 000000007668: 8152633B
	s_sub_i32 s82, s82, 1                                      // 00000000766C: 81D28152
	s_add_i32 s81, s59, 16                                     // 000000007670: 8151903B
	s_sub_i32 s81, s81, s100                                   // 000000007674: 81D16451
	s_add_i32 s81, s81, 1                                      // 000000007678: 81518151
	s_branch label_0E26                                        // 00000000767C: BF820000

0000000000007680 <label_0E26>:
	s_add_i32 s62, 0, s46                                      // 000000007680: 813E2E80
	s_mul_i32 s62, s62, 16                                     // 000000007684: 923E903E
	s_add_i32 s62, s80, s62                                    // 000000007688: 813E3E50
	s_add_i32 s61, s62, 16                                     // 00000000768C: 813D903E
	s_add_i32 s61, s61, 16                                     // 000000007690: 813D903D
	s_cmp_lt_i32 s61, s81                                      // 000000007694: BF04513D
	s_cselect_b32 s60, 1, 0                                    // 000000007698: 853C8081
	s_sub_i32 s62, s62, 16                                     // 00000000769C: 81BE903E
	s_cmp_gt_i32 s62, s82                                      // 0000000076A0: BF02523E
	s_cselect_b32 s61, 1, 0                                    // 0000000076A4: 853D8081
	s_or_b32 s60, s60, s61                                     // 0000000076A8: 873C3D3C
	s_cmp_eq_i32 s60, 1                                        // 0000000076AC: BF00813C
	s_cbranch_scc1 label_0EB9                                  // 0000000076B0: BF850085
	s_add_i32 s61, s62, 32                                     // 0000000076B4: 813DA03E
	s_add_i32 s62, s62, 16                                     // 0000000076B8: 813E903E
	s_cmp_lt_i32 s62, s81                                      // 0000000076BC: BF04513E
	s_cselect_b32 s60, 1, 0                                    // 0000000076C0: 853C8081
	s_cmp_gt_i32 s61, s82                                      // 0000000076C4: BF02523D
	s_cselect_b32 s61, 1, 0                                    // 0000000076C8: 853D8081
	s_or_b32 s60, s60, s61                                     // 0000000076CC: 873C3D3C
	s_cmp_eq_i32 s60, 1                                        // 0000000076D0: BF00813C
	s_cbranch_scc1 label_0E6C                                  // 0000000076D4: BF85002F
	s_branch label_0E3D                                        // 0000000076D8: BF820000

00000000000076dc <label_0E3D>:
	s_add_i32 s62, 4, s46                                      // 0000000076DC: 813E2E84
	s_mul_i32 s62, s62, 16                                     // 0000000076E0: 923E903E
	s_add_i32 s62, s80, s62                                    // 0000000076E4: 813E3E50
	s_add_i32 s61, s62, 16                                     // 0000000076E8: 813D903E
	s_add_i32 s61, s61, 16                                     // 0000000076EC: 813D903D
	s_cmp_lt_i32 s61, s81                                      // 0000000076F0: BF04513D
	s_cselect_b32 s60, 1, 0                                    // 0000000076F4: 853C8081
	s_sub_i32 s62, s62, 16                                     // 0000000076F8: 81BE903E
	s_cmp_gt_i32 s62, s82                                      // 0000000076FC: BF02523E
	s_cselect_b32 s61, 1, 0                                    // 000000007700: 853D8081
	s_or_b32 s60, s60, s61                                     // 000000007704: 873C3D3C
	s_cmp_eq_i32 s60, 1                                        // 000000007708: BF00813C
	s_cbranch_scc1 label_0F0B                                  // 00000000770C: BF8500C0
	s_add_i32 s61, s62, 32                                     // 000000007710: 813DA03E
	s_add_i32 s62, s62, 16                                     // 000000007714: 813E903E
	s_cmp_lt_i32 s62, s81                                      // 000000007718: BF04513E
	s_cselect_b32 s60, 1, 0                                    // 00000000771C: 853C8081
	s_cmp_gt_i32 s61, s82                                      // 000000007720: BF02523D
	s_cselect_b32 s61, 1, 0                                    // 000000007724: 853D8081
	s_or_b32 s60, s60, s61                                     // 000000007728: 873C3D3C
	s_cmp_eq_i32 s60, 1                                        // 00000000772C: BF00813C
	s_cbranch_scc1 label_0EBE                                  // 000000007730: BF85006A
	s_branch label_0E54                                        // 000000007734: BF820000

0000000000007738 <label_0E54>:
	s_add_i32 s62, 8, s46                                      // 000000007738: 813E2E88
	s_mul_i32 s62, s62, 16                                     // 00000000773C: 923E903E
	s_add_i32 s62, s80, s62                                    // 000000007740: 813E3E50
	s_add_i32 s61, s62, 16                                     // 000000007744: 813D903E
	s_add_i32 s61, s61, 16                                     // 000000007748: 813D903D
	s_cmp_lt_i32 s61, s81                                      // 00000000774C: BF04513D
	s_cselect_b32 s60, 1, 0                                    // 000000007750: 853C8081
	s_sub_i32 s62, s62, 16                                     // 000000007754: 81BE903E
	s_cmp_gt_i32 s62, s82                                      // 000000007758: BF02523E
	s_cselect_b32 s61, 1, 0                                    // 00000000775C: 853D8081
	s_or_b32 s60, s60, s61                                     // 000000007760: 873C3D3C
	s_cmp_eq_i32 s60, 1                                        // 000000007764: BF00813C
	s_cbranch_scc1 label_0F5D                                  // 000000007768: BF8500FB
	s_add_i32 s61, s62, 32                                     // 00000000776C: 813DA03E
	s_add_i32 s62, s62, 16                                     // 000000007770: 813E903E
	s_cmp_lt_i32 s62, s81                                      // 000000007774: BF04513E
	s_cselect_b32 s60, 1, 0                                    // 000000007778: 853C8081
	s_cmp_gt_i32 s61, s82                                      // 00000000777C: BF02523D
	s_cselect_b32 s61, 1, 0                                    // 000000007780: 853D8081
	s_or_b32 s60, s60, s61                                     // 000000007784: 873C3D3C
	s_cmp_eq_i32 s60, 1                                        // 000000007788: BF00813C
	s_cbranch_scc1 label_0F10                                  // 00000000778C: BF8500A5
	s_branch label_0F62                                        // 000000007790: BF8200F6

0000000000007794 <label_0E6C>:
	v_and_b32_e32 v28, 15, v0                                  // 000000007794: 2638008F
	v_add_u32_e32 v28, s62, v28                                // 000000007798: 6838383E
	v_lshrrev_b32_e32 v29, 4, v0                               // 00000000779C: 203A0084
	v_lshlrev_b32_e32 v29, 2, v29                              // 0000000077A0: 243A3A82
	v_add_i32 v29, 0, v29                                      // 0000000077A4: D29C001D 00023A80
	v_add_i32 v29, s59, v29                                    // 0000000077AC: D29C001D 00023A3B
	v_sub_i32 v29, v29, v28                                    // 0000000077B4: D29D001D 0002391D
	v_cmp_ge_i32_e64 vcc, v29, s100                            // 0000000077BC: D0C6006A 0000C91D
	v_sub_i32 v29, 0, v29                                      // 0000000077C4: D29D001D 00023A80
	v_cndmask_b32_e32 v48, v48, v151, vcc                      // 0000000077CC: 00612F30
	v_cmp_ge_i32_e64 vcc, v29, s99                             // 0000000077D0: D0C6006A 0000C71D
	s_nop 1                                                    // 0000000077D8: BF800001
	v_cndmask_b32_e32 v48, v48, v151, vcc                      // 0000000077DC: 00612F30
	v_and_b32_e32 v28, 15, v0                                  // 0000000077E0: 2638008F
	v_add_u32_e32 v28, s62, v28                                // 0000000077E4: 6838383E
	v_lshrrev_b32_e32 v29, 4, v0                               // 0000000077E8: 203A0084
	v_lshlrev_b32_e32 v29, 2, v29                              // 0000000077EC: 243A3A82
	v_add_i32 v29, 1, v29                                      // 0000000077F0: D29C001D 00023A81
	v_add_i32 v29, s59, v29                                    // 0000000077F8: D29C001D 00023A3B
	v_sub_i32 v29, v29, v28                                    // 000000007800: D29D001D 0002391D
	v_cmp_ge_i32_e64 vcc, v29, s100                            // 000000007808: D0C6006A 0000C91D
	v_sub_i32 v29, 0, v29                                      // 000000007810: D29D001D 00023A80
	v_cndmask_b32_e32 v49, v49, v151, vcc                      // 000000007818: 00632F31
	v_cmp_ge_i32_e64 vcc, v29, s99                             // 00000000781C: D0C6006A 0000C71D
	s_nop 1                                                    // 000000007824: BF800001
	v_cndmask_b32_e32 v49, v49, v151, vcc                      // 000000007828: 00632F31
	v_and_b32_e32 v28, 15, v0                                  // 00000000782C: 2638008F
	v_add_u32_e32 v28, s62, v28                                // 000000007830: 6838383E
	v_lshrrev_b32_e32 v29, 4, v0                               // 000000007834: 203A0084
	v_lshlrev_b32_e32 v29, 2, v29                              // 000000007838: 243A3A82
	v_add_i32 v29, 2, v29                                      // 00000000783C: D29C001D 00023A82
	v_add_i32 v29, s59, v29                                    // 000000007844: D29C001D 00023A3B
	v_sub_i32 v29, v29, v28                                    // 00000000784C: D29D001D 0002391D
	v_cmp_ge_i32_e64 vcc, v29, s100                            // 000000007854: D0C6006A 0000C91D
	v_sub_i32 v29, 0, v29                                      // 00000000785C: D29D001D 00023A80
	v_cndmask_b32_e32 v50, v50, v151, vcc                      // 000000007864: 00652F32
	v_cmp_ge_i32_e64 vcc, v29, s99                             // 000000007868: D0C6006A 0000C71D
	s_nop 1                                                    // 000000007870: BF800001
	v_cndmask_b32_e32 v50, v50, v151, vcc                      // 000000007874: 00652F32
	v_and_b32_e32 v28, 15, v0                                  // 000000007878: 2638008F
	v_add_u32_e32 v28, s62, v28                                // 00000000787C: 6838383E
	v_lshrrev_b32_e32 v29, 4, v0                               // 000000007880: 203A0084
	v_lshlrev_b32_e32 v29, 2, v29                              // 000000007884: 243A3A82
	v_add_i32 v29, 3, v29                                      // 000000007888: D29C001D 00023A83
	v_add_i32 v29, s59, v29                                    // 000000007890: D29C001D 00023A3B
	v_sub_i32 v29, v29, v28                                    // 000000007898: D29D001D 0002391D
	v_cmp_ge_i32_e64 vcc, v29, s100                            // 0000000078A0: D0C6006A 0000C91D
	v_sub_i32 v29, 0, v29                                      // 0000000078A8: D29D001D 00023A80
	v_cndmask_b32_e32 v51, v51, v151, vcc                      // 0000000078B0: 00672F33
	v_cmp_ge_i32_e64 vcc, v29, s99                             // 0000000078B4: D0C6006A 0000C71D
	s_nop 1                                                    // 0000000078BC: BF800001
	v_cndmask_b32_e32 v51, v51, v151, vcc                      // 0000000078C0: 00672F33
	s_branch label_0E3D                                        // 0000000078C4: BF82FF85

00000000000078c8 <label_0EB9>:
	v_mov_b32_e32 v48, v151                                    // 0000000078C8: 7E600397
	v_mov_b32_e32 v49, v151                                    // 0000000078CC: 7E620397
	v_mov_b32_e32 v50, v151                                    // 0000000078D0: 7E640397
	v_mov_b32_e32 v51, v151                                    // 0000000078D4: 7E660397
	s_branch label_0E3D                                        // 0000000078D8: BF82FF80

00000000000078dc <label_0EBE>:
	v_and_b32_e32 v28, 15, v0                                  // 0000000078DC: 2638008F
	v_add_u32_e32 v28, s62, v28                                // 0000000078E0: 6838383E
	v_lshrrev_b32_e32 v29, 4, v0                               // 0000000078E4: 203A0084
	v_lshlrev_b32_e32 v29, 2, v29                              // 0000000078E8: 243A3A82
	v_add_i32 v29, 0, v29                                      // 0000000078EC: D29C001D 00023A80
	v_add_i32 v29, s59, v29                                    // 0000000078F4: D29C001D 00023A3B
	v_sub_i32 v29, v29, v28                                    // 0000000078FC: D29D001D 0002391D
	v_cmp_ge_i32_e64 vcc, v29, s100                            // 000000007904: D0C6006A 0000C91D
	v_sub_i32 v29, 0, v29                                      // 00000000790C: D29D001D 00023A80
	v_cndmask_b32_e32 v52, v52, v151, vcc                      // 000000007914: 00692F34
	v_cmp_ge_i32_e64 vcc, v29, s99                             // 000000007918: D0C6006A 0000C71D
	s_nop 1                                                    // 000000007920: BF800001
	v_cndmask_b32_e32 v52, v52, v151, vcc                      // 000000007924: 00692F34
	v_and_b32_e32 v28, 15, v0                                  // 000000007928: 2638008F
	v_add_u32_e32 v28, s62, v28                                // 00000000792C: 6838383E
	v_lshrrev_b32_e32 v29, 4, v0                               // 000000007930: 203A0084
	v_lshlrev_b32_e32 v29, 2, v29                              // 000000007934: 243A3A82
	v_add_i32 v29, 1, v29                                      // 000000007938: D29C001D 00023A81
	v_add_i32 v29, s59, v29                                    // 000000007940: D29C001D 00023A3B
	v_sub_i32 v29, v29, v28                                    // 000000007948: D29D001D 0002391D
	v_cmp_ge_i32_e64 vcc, v29, s100                            // 000000007950: D0C6006A 0000C91D
	v_sub_i32 v29, 0, v29                                      // 000000007958: D29D001D 00023A80
	v_cndmask_b32_e32 v53, v53, v151, vcc                      // 000000007960: 006B2F35
	v_cmp_ge_i32_e64 vcc, v29, s99                             // 000000007964: D0C6006A 0000C71D
	s_nop 1                                                    // 00000000796C: BF800001
	v_cndmask_b32_e32 v53, v53, v151, vcc                      // 000000007970: 006B2F35
	v_and_b32_e32 v28, 15, v0                                  // 000000007974: 2638008F
	v_add_u32_e32 v28, s62, v28                                // 000000007978: 6838383E
	v_lshrrev_b32_e32 v29, 4, v0                               // 00000000797C: 203A0084
	v_lshlrev_b32_e32 v29, 2, v29                              // 000000007980: 243A3A82
	v_add_i32 v29, 2, v29                                      // 000000007984: D29C001D 00023A82
	v_add_i32 v29, s59, v29                                    // 00000000798C: D29C001D 00023A3B
	v_sub_i32 v29, v29, v28                                    // 000000007994: D29D001D 0002391D
	v_cmp_ge_i32_e64 vcc, v29, s100                            // 00000000799C: D0C6006A 0000C91D
	v_sub_i32 v29, 0, v29                                      // 0000000079A4: D29D001D 00023A80
	v_cndmask_b32_e32 v54, v54, v151, vcc                      // 0000000079AC: 006D2F36
	v_cmp_ge_i32_e64 vcc, v29, s99                             // 0000000079B0: D0C6006A 0000C71D
	s_nop 1                                                    // 0000000079B8: BF800001
	v_cndmask_b32_e32 v54, v54, v151, vcc                      // 0000000079BC: 006D2F36
	v_and_b32_e32 v28, 15, v0                                  // 0000000079C0: 2638008F
	v_add_u32_e32 v28, s62, v28                                // 0000000079C4: 6838383E
	v_lshrrev_b32_e32 v29, 4, v0                               // 0000000079C8: 203A0084
	v_lshlrev_b32_e32 v29, 2, v29                              // 0000000079CC: 243A3A82
	v_add_i32 v29, 3, v29                                      // 0000000079D0: D29C001D 00023A83
	v_add_i32 v29, s59, v29                                    // 0000000079D8: D29C001D 00023A3B
	v_sub_i32 v29, v29, v28                                    // 0000000079E0: D29D001D 0002391D
	v_cmp_ge_i32_e64 vcc, v29, s100                            // 0000000079E8: D0C6006A 0000C91D
	v_sub_i32 v29, 0, v29                                      // 0000000079F0: D29D001D 00023A80
	v_cndmask_b32_e32 v55, v55, v151, vcc                      // 0000000079F8: 006F2F37
	v_cmp_ge_i32_e64 vcc, v29, s99                             // 0000000079FC: D0C6006A 0000C71D
	s_nop 1                                                    // 000000007A04: BF800001
	v_cndmask_b32_e32 v55, v55, v151, vcc                      // 000000007A08: 006F2F37
	s_branch label_0E54                                        // 000000007A0C: BF82FF4A

0000000000007a10 <label_0F0B>:
	v_mov_b32_e32 v52, v151                                    // 000000007A10: 7E680397
	v_mov_b32_e32 v53, v151                                    // 000000007A14: 7E6A0397
	v_mov_b32_e32 v54, v151                                    // 000000007A18: 7E6C0397
	v_mov_b32_e32 v55, v151                                    // 000000007A1C: 7E6E0397
	s_branch label_0E54                                        // 000000007A20: BF82FF45

0000000000007a24 <label_0F10>:
	v_and_b32_e32 v28, 15, v0                                  // 000000007A24: 2638008F
	v_add_u32_e32 v28, s62, v28                                // 000000007A28: 6838383E
	v_lshrrev_b32_e32 v29, 4, v0                               // 000000007A2C: 203A0084
	v_lshlrev_b32_e32 v29, 2, v29                              // 000000007A30: 243A3A82
	v_add_i32 v29, 0, v29                                      // 000000007A34: D29C001D 00023A80
	v_add_i32 v29, s59, v29                                    // 000000007A3C: D29C001D 00023A3B
	v_sub_i32 v29, v29, v28                                    // 000000007A44: D29D001D 0002391D
	v_cmp_ge_i32_e64 vcc, v29, s100                            // 000000007A4C: D0C6006A 0000C91D
	v_sub_i32 v29, 0, v29                                      // 000000007A54: D29D001D 00023A80
	v_cndmask_b32_e32 v56, v56, v151, vcc                      // 000000007A5C: 00712F38
	v_cmp_ge_i32_e64 vcc, v29, s99                             // 000000007A60: D0C6006A 0000C71D
	s_nop 1                                                    // 000000007A68: BF800001
	v_cndmask_b32_e32 v56, v56, v151, vcc                      // 000000007A6C: 00712F38
	v_and_b32_e32 v28, 15, v0                                  // 000000007A70: 2638008F
	v_add_u32_e32 v28, s62, v28                                // 000000007A74: 6838383E
	v_lshrrev_b32_e32 v29, 4, v0                               // 000000007A78: 203A0084
	v_lshlrev_b32_e32 v29, 2, v29                              // 000000007A7C: 243A3A82
	v_add_i32 v29, 1, v29                                      // 000000007A80: D29C001D 00023A81
	v_add_i32 v29, s59, v29                                    // 000000007A88: D29C001D 00023A3B
	v_sub_i32 v29, v29, v28                                    // 000000007A90: D29D001D 0002391D
	v_cmp_ge_i32_e64 vcc, v29, s100                            // 000000007A98: D0C6006A 0000C91D
	v_sub_i32 v29, 0, v29                                      // 000000007AA0: D29D001D 00023A80
	v_cndmask_b32_e32 v57, v57, v151, vcc                      // 000000007AA8: 00732F39
	v_cmp_ge_i32_e64 vcc, v29, s99                             // 000000007AAC: D0C6006A 0000C71D
	s_nop 1                                                    // 000000007AB4: BF800001
	v_cndmask_b32_e32 v57, v57, v151, vcc                      // 000000007AB8: 00732F39
	v_and_b32_e32 v28, 15, v0                                  // 000000007ABC: 2638008F
	v_add_u32_e32 v28, s62, v28                                // 000000007AC0: 6838383E
	v_lshrrev_b32_e32 v29, 4, v0                               // 000000007AC4: 203A0084
	v_lshlrev_b32_e32 v29, 2, v29                              // 000000007AC8: 243A3A82
	v_add_i32 v29, 2, v29                                      // 000000007ACC: D29C001D 00023A82
	v_add_i32 v29, s59, v29                                    // 000000007AD4: D29C001D 00023A3B
	v_sub_i32 v29, v29, v28                                    // 000000007ADC: D29D001D 0002391D
	v_cmp_ge_i32_e64 vcc, v29, s100                            // 000000007AE4: D0C6006A 0000C91D
	v_sub_i32 v29, 0, v29                                      // 000000007AEC: D29D001D 00023A80
	v_cndmask_b32_e32 v58, v58, v151, vcc                      // 000000007AF4: 00752F3A
	v_cmp_ge_i32_e64 vcc, v29, s99                             // 000000007AF8: D0C6006A 0000C71D
	s_nop 1                                                    // 000000007B00: BF800001
	v_cndmask_b32_e32 v58, v58, v151, vcc                      // 000000007B04: 00752F3A
	v_and_b32_e32 v28, 15, v0                                  // 000000007B08: 2638008F
	v_add_u32_e32 v28, s62, v28                                // 000000007B0C: 6838383E
	v_lshrrev_b32_e32 v29, 4, v0                               // 000000007B10: 203A0084
	v_lshlrev_b32_e32 v29, 2, v29                              // 000000007B14: 243A3A82
	v_add_i32 v29, 3, v29                                      // 000000007B18: D29C001D 00023A83
	v_add_i32 v29, s59, v29                                    // 000000007B20: D29C001D 00023A3B
	v_sub_i32 v29, v29, v28                                    // 000000007B28: D29D001D 0002391D
	v_cmp_ge_i32_e64 vcc, v29, s100                            // 000000007B30: D0C6006A 0000C91D
	v_sub_i32 v29, 0, v29                                      // 000000007B38: D29D001D 00023A80
	v_cndmask_b32_e32 v59, v59, v151, vcc                      // 000000007B40: 00772F3B
	v_cmp_ge_i32_e64 vcc, v29, s99                             // 000000007B44: D0C6006A 0000C71D
	s_nop 1                                                    // 000000007B4C: BF800001
	v_cndmask_b32_e32 v59, v59, v151, vcc                      // 000000007B50: 00772F3B
	s_branch label_0F62                                        // 000000007B54: BF820005

0000000000007b58 <label_0F5D>:
	v_mov_b32_e32 v56, v151                                    // 000000007B58: 7E700397
	v_mov_b32_e32 v57, v151                                    // 000000007B5C: 7E720397
	v_mov_b32_e32 v58, v151                                    // 000000007B60: 7E740397
	v_mov_b32_e32 v59, v151                                    // 000000007B64: 7E760397
	s_branch label_0F62                                        // 000000007B68: BF820000

0000000000007b6c <label_0F62>:
	s_cmp_lt_i32 s94, 0xc0                                     // 000000007B6C: BF04FF5E 000000C0
	s_cbranch_scc0 label_0FB7                                  // 000000007B74: BF84004D
	s_cmp_le_i32 s94, 64                                       // 000000007B78: BF05C05E
	s_cbranch_scc1 label_0F6E                                  // 000000007B7C: BF850007
	s_cmp_le_i32 s94, 0x80                                     // 000000007B80: BF05FF5E 00000080
	s_cbranch_scc1 label_0F86                                  // 000000007B88: BF850017
	s_cmp_lt_i32 s94, 0xc0                                     // 000000007B8C: BF04FF5E 000000C0
	s_cbranch_scc1 label_0F9E                                  // 000000007B94: BF85002C
	s_branch label_0FB7                                        // 000000007B98: BF820044

0000000000007b9c <label_0F6E>:
	s_mov_b32 s60, 0                                           // 000000007B9C: BEBC0080
	v_and_b32_e32 v28, 15, v0                                  // 000000007BA0: 2638008F
	v_add_u32_e64 v28, v28, s60                                // 000000007BA4: D134001C 0000791C
	v_mul_i32_i24_e64 v29, s46, 16                             // 000000007BAC: D106001D 0001202E
	v_add_u32_e32 v28, v28, v29                                // 000000007BB4: 68383B1C
	v_cmp_lt_u32_e64 s[60:61], v28, s94                        // 000000007BB8: D0C9003C 0000BD1C
	s_nop 1                                                    // 000000007BC0: BF800001
	v_cndmask_b32_e64 v48, v151, v48, s[60:61]                 // 000000007BC4: D1000030 00F26197
	v_cndmask_b32_e64 v49, v151, v49, s[60:61]                 // 000000007BCC: D1000031 00F26397
	v_cndmask_b32_e64 v50, v151, v50, s[60:61]                 // 000000007BD4: D1000032 00F26597
	v_cndmask_b32_e64 v51, v151, v51, s[60:61]                 // 000000007BDC: D1000033 00F26797
	s_branch label_0F99                                        // 000000007BE4: BF820013

0000000000007be8 <label_0F86>:
	s_mov_b32 s60, 64                                          // 000000007BE8: BEBC00C0
	v_and_b32_e32 v28, 15, v0                                  // 000000007BEC: 2638008F
	v_add_u32_e64 v28, v28, s60                                // 000000007BF0: D134001C 0000791C
	v_mul_i32_i24_e64 v29, s46, 16                             // 000000007BF8: D106001D 0001202E
	v_add_u32_e32 v28, v28, v29                                // 000000007C00: 68383B1C
	v_cmp_lt_u32_e64 s[60:61], v28, s94                        // 000000007C04: D0C9003C 0000BD1C
	s_nop 1                                                    // 000000007C0C: BF800001
	v_cndmask_b32_e64 v52, v151, v52, s[60:61]                 // 000000007C10: D1000034 00F26997
	v_cndmask_b32_e64 v53, v151, v53, s[60:61]                 // 000000007C18: D1000035 00F26B97
	v_cndmask_b32_e64 v54, v151, v54, s[60:61]                 // 000000007C20: D1000036 00F26D97
	v_cndmask_b32_e64 v55, v151, v55, s[60:61]                 // 000000007C28: D1000037 00F26F97
	s_branch label_0FB2                                        // 000000007C30: BF820019

0000000000007c34 <label_0F99>:
	v_mov_b32_e32 v52, v151                                    // 000000007C34: 7E680397
	v_mov_b32_e32 v53, v151                                    // 000000007C38: 7E6A0397
	v_mov_b32_e32 v54, v151                                    // 000000007C3C: 7E6C0397
	v_mov_b32_e32 v55, v151                                    // 000000007C40: 7E6E0397
	s_branch label_0FB2                                        // 000000007C44: BF820014

0000000000007c48 <label_0F9E>:
	s_mov_b32 s60, 0x80                                        // 000000007C48: BEBC00FF 00000080
	v_and_b32_e32 v28, 15, v0                                  // 000000007C50: 2638008F
	v_add_u32_e64 v28, v28, s60                                // 000000007C54: D134001C 0000791C
	v_mul_i32_i24_e64 v29, s46, 16                             // 000000007C5C: D106001D 0001202E
	v_add_u32_e32 v28, v28, v29                                // 000000007C64: 68383B1C
	v_cmp_lt_u32_e64 s[60:61], v28, s94                        // 000000007C68: D0C9003C 0000BD1C
	s_nop 1                                                    // 000000007C70: BF800001
	v_cndmask_b32_e64 v56, v151, v56, s[60:61]                 // 000000007C74: D1000038 00F27197
	v_cndmask_b32_e64 v57, v151, v57, s[60:61]                 // 000000007C7C: D1000039 00F27397
	v_cndmask_b32_e64 v58, v151, v58, s[60:61]                 // 000000007C84: D100003A 00F27597
	v_cndmask_b32_e64 v59, v151, v59, s[60:61]                 // 000000007C8C: D100003B 00F27797
	s_branch label_0FB7                                        // 000000007C94: BF820005

0000000000007c98 <label_0FB2>:
	v_mov_b32_e32 v56, v151                                    // 000000007C98: 7E700397
	v_mov_b32_e32 v57, v151                                    // 000000007C9C: 7E720397
	v_mov_b32_e32 v58, v151                                    // 000000007CA0: 7E740397
	v_mov_b32_e32 v59, v151                                    // 000000007CA4: 7E760397
	s_branch label_0FB7                                        // 000000007CA8: BF820000

0000000000007cac <label_0FB7>:
	s_waitcnt lgkmcnt(8)                                       // 000000007CAC: BF8CC87F
	s_barrier                                                  // 000000007CB0: BF8A0000
	v_mfma_f32_16x16x16_bf16 v[72:75], v[92:93], a[96:97], 0   // 000000007CB4: D3E10048 1202C15C
	ds_read_b128 a[144:147], v12 offset:4352                   // 000000007CBC: DBFE1100 9000000C
	ds_read_b128 a[148:151], v12 offset:4864                   // 000000007CC4: DBFE1300 9400000C
	v_mfma_f32_16x16x16_bf16 v[72:75], v[94:95], a[98:99], v[72:75]// 000000007CCC: D3E10048 1522C55E
	v_fma_f32 v48, v48, s57, -v124                             // 000000007CD4: D1CB0030 85F07330
	v_fma_f32 v49, v49, s57, -v125                             // 000000007CDC: D1CB0031 85F47331
	v_fma_f32 v50, v50, s57, -v126                             // 000000007CE4: D1CB0032 85F87332
	v_mfma_f32_16x16x16_bf16 v[72:75], v[96:97], a[100:101], v[72:75]// 000000007CEC: D3E10048 1522C960
	v_fma_f32 v51, v51, s57, -v127                             // 000000007CF4: D1CB0033 85FC7333
	v_fma_f32 v52, v52, s57, -v124                             // 000000007CFC: D1CB0034 85F07334
	v_fma_f32 v53, v53, s57, -v125                             // 000000007D04: D1CB0035 85F47335
	v_mfma_f32_16x16x16_bf16 v[72:75], v[98:99], a[102:103], v[72:75]// 000000007D0C: D3E10048 1522CD62
	v_fma_f32 v54, v54, s57, -v126                             // 000000007D14: D1CB0036 85F87336
	v_fma_f32 v55, v55, s57, -v127                             // 000000007D1C: D1CB0037 85FC7337
	v_fma_f32 v56, v56, s57, -v124                             // 000000007D24: D1CB0038 85F07338
	v_mfma_f32_16x16x16_bf16 v[72:75], v[100:101], a[104:105], v[72:75]// 000000007D2C: D3E10048 1522D164
	ds_read_b128 a[152:155], v12 offset:6528                   // 000000007D34: DBFE1980 9800000C
	ds_read_b128 a[156:159], v12 offset:7040                   // 000000007D3C: DBFE1B80 9C00000C
	v_mfma_f32_16x16x16_bf16 v[72:75], v[102:103], a[106:107], v[72:75]// 000000007D44: D3E10048 1522D566
	v_fma_f32 v57, v57, s57, -v125                             // 000000007D4C: D1CB0039 85F47339
	v_fma_f32 v58, v58, s57, -v126                             // 000000007D54: D1CB003A 85F8733A
	v_fma_f32 v59, v59, s57, -v127                             // 000000007D5C: D1CB003B 85FC733B
	v_mfma_f32_16x16x16_bf16 v[72:75], v[104:105], a[108:109], v[72:75]// 000000007D64: D3E10048 1522D968
	v_exp_f32_e32 v48, v48                                     // 000000007D6C: 7E604130
	v_mfma_f32_16x16x16_bf16 v[72:75], v[106:107], a[110:111], v[72:75]// 000000007D70: D3E10048 1522DD6A
	v_exp_f32_e32 v49, v49                                     // 000000007D78: 7E624131
	v_mfma_f32_16x16x16_bf16 v[76:79], v[92:93], a[112:113], 0 // 000000007D7C: D3E1004C 1202E15C
	ds_read_b64 v[136:137], v19 offset:24320                   // 000000007D84: D8EC5F00 88000013
	ds_read_b64 v[138:139], v19 offset:26368                   // 000000007D8C: D8EC6700 8A000013
	v_mfma_f32_16x16x16_bf16 v[76:79], v[94:95], a[114:115], v[76:79]// 000000007D94: D3E1004C 1532E55E
	v_exp_f32_e32 v50, v50                                     // 000000007D9C: 7E644132
	v_mfma_f32_16x16x16_bf16 v[76:79], v[96:97], a[116:117], v[76:79]// 000000007DA0: D3E1004C 1532E960
	ds_read_b64 v[140:141], v19 offset:28416                   // 000000007DA8: D8EC6F00 8C000013
	ds_read_b64 v[142:143], v19 offset:30464                   // 000000007DB0: D8EC7700 8E000013
	v_mfma_f32_16x16x16_bf16 v[76:79], v[98:99], a[118:119], v[76:79]// 000000007DB8: D3E1004C 1532ED62
	v_exp_f32_e32 v51, v51                                     // 000000007DC0: 7E664133
	v_mfma_f32_16x16x16_bf16 v[76:79], v[100:101], a[120:121], v[76:79]// 000000007DC4: D3E1004C 1532F164
	v_exp_f32_e32 v52, v52                                     // 000000007DCC: 7E684134
	v_mfma_f32_16x16x16_bf16 v[76:79], v[102:103], a[122:123], v[76:79]// 000000007DD0: D3E1004C 1532F566
	v_exp_f32_e32 v53, v53                                     // 000000007DD8: 7E6A4135
	v_mfma_f32_16x16x16_bf16 v[76:79], v[104:105], a[124:125], v[76:79]// 000000007DDC: D3E1004C 1532F968
	v_exp_f32_e32 v54, v54                                     // 000000007DE4: 7E6C4136
	v_mfma_f32_16x16x16_bf16 v[76:79], v[106:107], a[126:127], v[76:79]// 000000007DE8: D3E1004C 1532FD6A
	v_exp_f32_e32 v55, v55                                     // 000000007DF0: 7E6E4137
	v_mfma_f32_16x16x16_bf16 v[80:83], v[92:93], a[128:129], 0 // 000000007DF4: D3E10050 1203015C
	v_exp_f32_e32 v56, v56                                     // 000000007DFC: 7E704138
	v_mfma_f32_16x16x16_bf16 v[80:83], v[94:95], a[130:131], v[80:83]// 000000007E00: D3E10050 1543055E
	v_exp_f32_e32 v57, v57                                     // 000000007E08: 7E724139
	v_mfma_f32_16x16x16_bf16 v[80:83], v[96:97], a[132:133], v[80:83]// 000000007E0C: D3E10050 15430960
	v_exp_f32_e32 v58, v58                                     // 000000007E14: 7E74413A
	v_mfma_f32_16x16x16_bf16 v[80:83], v[98:99], a[134:135], v[80:83]// 000000007E18: D3E10050 15430D62
	v_exp_f32_e32 v59, v59                                     // 000000007E20: 7E76413B
	v_mfma_f32_16x16x16_bf16 v[80:83], v[100:101], a[136:137], v[80:83]// 000000007E24: D3E10050 15431164
	v_perm_b32 v144, v49, v48, s64                             // 000000007E2C: D1ED0090 01026131
	v_perm_b32 v145, v51, v50, s64                             // 000000007E34: D1ED0091 01026533
	v_perm_b32 v146, v53, v52, s64                             // 000000007E3C: D1ED0092 01026935
	v_mfma_f32_16x16x16_bf16 v[80:83], v[102:103], a[138:139], v[80:83]// 000000007E44: D3E10050 15431566
	v_perm_b32 v147, v55, v54, s64                             // 000000007E4C: D1ED0093 01026D37
	v_perm_b32 v148, v57, v56, s64                             // 000000007E54: D1ED0094 01027139
	v_perm_b32 v149, v59, v58, s64                             // 000000007E5C: D1ED0095 0102753B
	v_mfma_f32_16x16x16_bf16 v[80:83], v[104:105], a[140:141], v[80:83]// 000000007E64: D3E10050 15431968
	v_add_u32_e32 v7, s66, v7                                  // 000000007E6C: 680E0E42
	v_add_u32_e32 v8, s66, v8                                  // 000000007E70: 68101042
	v_mfma_f32_16x16x16_bf16 v[80:83], v[106:107], a[142:143], v[80:83]// 000000007E74: D3E10050 15431D6A
	s_waitcnt lgkmcnt(0)                                       // 000000007E7C: BF8CC07F
	s_barrier                                                  // 000000007E80: BF8A0000
	v_mfma_f32_16x16x16_bf16 v[152:155], v[108:109], v[144:145], v[152:155]// 000000007E84: D3E10098 0663216C
	v_subrev_f32_dpp v72, v150, v72 quad_perm:[0,0,0,0] row_mask:0xf bank_mask:0xf// 000000007E8C: 069090FA FF000096
	v_subrev_f32_dpp v73, v150, v73 quad_perm:[1,1,1,1] row_mask:0xf bank_mask:0xf// 000000007E94: 069292FA FF005596
	v_subrev_f32_dpp v74, v150, v74 quad_perm:[2,2,2,2] row_mask:0xf bank_mask:0xf// 000000007E9C: 069494FA FF00AA96
	v_mfma_f32_16x16x16_bf16 v[156:159], v[110:111], v[144:145], v[156:159]// 000000007EA4: D3E1009C 0673216E
	v_subrev_f32_dpp v75, v150, v75 quad_perm:[3,3,3,3] row_mask:0xf bank_mask:0xf// 000000007EAC: 069696FA FF00FF96
	v_subrev_f32_dpp v76, v150, v76 quad_perm:[0,0,0,0] row_mask:0xf bank_mask:0xf// 000000007EB4: 069898FA FF000096
	v_subrev_f32_dpp v77, v150, v77 quad_perm:[1,1,1,1] row_mask:0xf bank_mask:0xf// 000000007EBC: 069A9AFA FF005596
	v_mfma_f32_16x16x16_bf16 v[160:163], v[112:113], v[144:145], v[160:163]// 000000007EC4: D3E100A0 06832170
	v_mul_f32_e32 v72, v48, v72                                // 000000007ECC: 0A909130
	v_mul_f32_e32 v73, v49, v73                                // 000000007ED0: 0A929331
	v_mul_f32_e32 v74, v50, v74                                // 000000007ED4: 0A949532
	v_mfma_f32_16x16x16_bf16 v[164:167], v[114:115], v[144:145], v[164:167]// 000000007ED8: D3E100A4 06932172
	v_mul_f32_e32 v75, v51, v75                                // 000000007EE0: 0A969733
	v_mul_f32_e32 v76, v52, v76                                // 000000007EE4: 0A989934
	v_mul_f32_e32 v77, v53, v77                                // 000000007EE8: 0A9A9B35
	v_mfma_f32_16x16x16_bf16 v[168:171], v[116:117], v[144:145], v[168:171]// 000000007EEC: D3E100A8 06A32174
	v_perm_b32 v72, v73, v72, s64                              // 000000007EF4: D1ED0048 01029149
	v_perm_b32 v73, v75, v74, s64                              // 000000007EFC: D1ED0049 0102954B
	v_perm_b32 v74, v77, v76, s64                              // 000000007F04: D1ED004A 0102994D
	v_mfma_f32_16x16x16_bf16 v[172:175], v[118:119], v[144:145], v[172:175]// 000000007F0C: D3E100AC 06B32176
	v_mov_b32_dpp v16, v72 quad_perm:[1,0,3,2] row_mask:0xf bank_mask:0xf// 000000007F14: 7E2002FA FF00B148
	v_perm_b32 v48, v16, v72, v15                              // 000000007F1C: D1ED0030 043E9110
	v_mov_b32_dpp v16, v73 quad_perm:[1,0,3,2] row_mask:0xf bank_mask:0xf// 000000007F24: 7E2002FA FF00B149
	v_mfma_f32_16x16x16_bf16 v[176:179], v[120:121], v[144:145], v[176:179]// 000000007F2C: D3E100B0 06C32178
	v_perm_b32 v49, v16, v73, v15                              // 000000007F34: D1ED0031 043E9310
	v_mov_b32_dpp v16, v74 quad_perm:[1,0,3,2] row_mask:0xf bank_mask:0xf// 000000007F3C: 7E2002FA FF00B14A
	v_perm_b32 v50, v16, v74, v15                              // 000000007F44: D1ED0032 043E9510
	v_mfma_f32_16x16x16_bf16 v[180:183], v[122:123], v[144:145], v[180:183]// 000000007F4C: D3E100B4 06D3217A
	ds_write_b32 v18, v48 offset:17408                         // 000000007F54: D81A4400 00003012
	v_mfma_f32_16x16x16_bf16 v[184:187], v[108:109], v[146:147], v[184:187]// 000000007F5C: D3E100B8 06E3256C
	v_subrev_f32_dpp v78, v150, v78 quad_perm:[2,2,2,2] row_mask:0xf bank_mask:0xf// 000000007F64: 069C9CFA FF00AA96
	v_subrev_f32_dpp v79, v150, v79 quad_perm:[3,3,3,3] row_mask:0xf bank_mask:0xf// 000000007F6C: 069E9EFA FF00FF96
	v_subrev_f32_dpp v80, v150, v80 quad_perm:[0,0,0,0] row_mask:0xf bank_mask:0xf// 000000007F74: 06A0A0FA FF000096
	v_mfma_f32_16x16x16_bf16 v[188:191], v[110:111], v[146:147], v[188:191]// 000000007F7C: D3E100BC 06F3256E
	ds_write_b32 v18, v49 offset:17952                         // 000000007F84: D81A4620 00003112
	v_mfma_f32_16x16x16_bf16 v[192:195], v[112:113], v[146:147], v[192:195]// 000000007F8C: D3E100C0 07032570
	v_subrev_f32_dpp v81, v150, v81 quad_perm:[1,1,1,1] row_mask:0xf bank_mask:0xf// 000000007F94: 06A2A2FA FF005596
	v_subrev_f32_dpp v82, v150, v82 quad_perm:[2,2,2,2] row_mask:0xf bank_mask:0xf// 000000007F9C: 06A4A4FA FF00AA96
	v_subrev_f32_dpp v83, v150, v83 quad_perm:[3,3,3,3] row_mask:0xf bank_mask:0xf// 000000007FA4: 06A6A6FA FF00FF96
	v_mfma_f32_16x16x16_bf16 v[196:199], v[114:115], v[146:147], v[196:199]// 000000007FAC: D3E100C4 07132572
	ds_write_b32 v18, v50 offset:19712                         // 000000007FB4: D81A4D00 00003212
	v_mfma_f32_16x16x16_bf16 v[200:203], v[116:117], v[146:147], v[200:203]// 000000007FBC: D3E100C8 07232574
	v_mul_f32_e32 v78, v54, v78                                // 000000007FC4: 0A9C9D36
	v_mul_f32_e32 v79, v55, v79                                // 000000007FC8: 0A9E9F37
	v_mul_f32_e32 v80, v56, v80                                // 000000007FCC: 0AA0A138
	v_mfma_f32_16x16x16_bf16 v[204:207], v[118:119], v[146:147], v[204:207]// 000000007FD0: D3E100CC 07332576
	v_mul_f32_e32 v81, v57, v81                                // 000000007FD8: 0AA2A339
	v_mul_f32_e32 v82, v58, v82                                // 000000007FDC: 0AA4A53A
	v_mul_f32_e32 v83, v59, v83                                // 000000007FE0: 0AA6A73B
	v_mfma_f32_16x16x16_bf16 v[208:211], v[120:121], v[146:147], v[208:211]// 000000007FE4: D3E100D0 07432578
	v_perm_b32 v75, v79, v78, s64                              // 000000007FEC: D1ED004B 01029D4F
	v_perm_b32 v76, v81, v80, s64                              // 000000007FF4: D1ED004C 0102A151
	v_perm_b32 v77, v83, v82, s64                              // 000000007FFC: D1ED004D 0102A553
	v_mfma_f32_16x16x16_bf16 v[212:215], v[122:123], v[146:147], v[212:215]// 000000008004: D3E100D4 0753257A
	v_mov_b32_dpp v16, v75 quad_perm:[1,0,3,2] row_mask:0xf bank_mask:0xf// 00000000800C: 7E2002FA FF00B14B
	v_perm_b32 v51, v16, v75, v15                              // 000000008014: D1ED0033 043E9710
	v_mov_b32_dpp v16, v76 quad_perm:[1,0,3,2] row_mask:0xf bank_mask:0xf// 00000000801C: 7E2002FA FF00B14C
	v_mfma_f32_16x16x16_bf16 v[216:219], v[108:109], v[148:149], v[216:219]// 000000008024: D3E100D8 0763296C
	v_perm_b32 v52, v16, v76, v15                              // 00000000802C: D1ED0034 043E9910
	v_mov_b32_dpp v16, v77 quad_perm:[1,0,3,2] row_mask:0xf bank_mask:0xf// 000000008034: 7E2002FA FF00B14D
	v_perm_b32 v53, v16, v77, v15                              // 00000000803C: D1ED0035 043E9B10
	v_mfma_f32_16x16x16_bf16 v[220:223], v[110:111], v[148:149], v[220:223]// 000000008044: D3E100DC 0773296E
	ds_write_b32 v18, v51 offset:20256                         // 00000000804C: D81A4F20 00003312
	v_mfma_f32_16x16x16_bf16 v[224:227], v[112:113], v[148:149], v[224:227]// 000000008054: D3E100E0 07832970
	v_mfma_f32_16x16x16_bf16 v[228:231], v[114:115], v[148:149], v[228:231]// 00000000805C: D3E100E4 07932972
	ds_write_b32 v18, v52 offset:22016                         // 000000008064: D81A5600 00003412
	ds_write_b32 v18, v53 offset:22560                         // 00000000806C: D81A5820 00003512
	v_mfma_f32_16x16x16_bf16 v[232:235], v[116:117], v[148:149], v[232:235]// 000000008074: D3E100E8 07A32974
	v_mfma_f32_16x16x16_bf16 v[236:239], v[118:119], v[148:149], v[236:239]// 00000000807C: D3E100EC 07B32976
	ds_write_b32 v13, v84 offset:4352                          // 000000008084: D81A1100 0000540D
	ds_write_b32 v13, v85 offset:5408                          // 00000000808C: D81A1520 0000550D
	v_mfma_f32_16x16x16_bf16 v[240:243], v[120:121], v[148:149], v[240:243]// 000000008094: D3E100F0 07C32978
	s_nop 0                                                    // 00000000809C: BF800000
	s_nop 0                                                    // 0000000080A0: BF800000
	s_nop 0                                                    // 0000000080A4: BF800000
	v_mfma_f32_16x16x16_bf16 v[244:247], v[122:123], v[148:149], v[244:247]// 0000000080A8: D3E100F4 07D3297A
	ds_write_b32 v13, v86 offset:4480                          // 0000000080B0: D81A1180 0000560D
	ds_write_b32 v13, v87 offset:5536                          // 0000000080B8: D81A15A0 0000570D
	s_barrier                                                  // 0000000080C0: BF8A0000
	v_mfma_f32_16x16x16_bf16 a[160:163], a[144:145], v[72:73], a[160:163]// 0000000080C4: D3E180A0 0E829190
	buffer_atomic_add_f32 v136, v7, s[32:35], 0 offen          // 0000000080CC: E1341000 80088807
	v_mfma_f32_16x16x16_bf16 a[164:167], a[146:147], v[72:73], a[164:167]// 0000000080D4: D3E180A4 0E929192
	ds_read_b32 v124, v21 offset:50688                         // 0000000080DC: D86CC600 7C000015
	ds_read_b32 v150, v21 offset:50944                         // 0000000080E4: D86CC700 96000015
	v_mfma_f32_16x16x16_bf16 a[168:171], a[148:149], v[72:73], a[168:171]// 0000000080EC: D3E180A8 0EA29194
	s_waitcnt lgkmcnt(6)                                       // 0000000080F4: BF8CC67F
	s_barrier                                                  // 0000000080F8: BF8A0000
	v_mfma_f32_16x16x16_bf16 a[172:175], a[150:151], v[72:73], a[172:175]// 0000000080FC: D3E180AC 0EB29196
	ds_read_b128 v[48:51], v17 offset:17408                    // 000000008104: D9FE4400 30000011
	v_mfma_f32_16x16x16_bf16 a[176:179], a[152:153], v[72:73], a[176:179]// 00000000810C: D3E180B0 0EC29198
	v_mfma_f32_16x16x16_bf16 a[180:183], a[154:155], v[72:73], a[180:183]// 000000008114: D3E180B4 0ED2919A
	ds_read_b128 v[52:55], v17 offset:18560                    // 00000000811C: D9FE4880 34000011
	v_mfma_f32_16x16x16_bf16 a[184:187], a[156:157], v[72:73], a[184:187]// 000000008124: D3E180B8 0EE2919C
	buffer_atomic_add_f32 v137, v8, s[32:35], 0 offen          // 00000000812C: E1341000 80088908
	v_mfma_f32_16x16x16_bf16 a[188:191], a[158:159], v[72:73], a[188:191]// 000000008134: D3E180BC 0EF2919E
	ds_read_b128 v[56:59], v17 offset:19712                    // 00000000813C: D9FE4D00 38000011
	v_mfma_f32_16x16x16_bf16 a[192:195], a[144:145], v[74:75], a[192:195]// 000000008144: D3E180C0 0F029590
	v_mfma_f32_16x16x16_bf16 a[196:199], a[146:147], v[74:75], a[196:199]// 00000000814C: D3E180C4 0F129592
	ds_read_b128 v[60:63], v17 offset:20864                    // 000000008154: D9FE5180 3C000011
	v_mfma_f32_16x16x16_bf16 a[200:203], a[148:149], v[74:75], a[200:203]// 00000000815C: D3E180C8 0F229594
	v_mfma_f32_16x16x16_bf16 a[204:207], a[150:151], v[74:75], a[204:207]// 000000008164: D3E180CC 0F329596
	ds_read_b128 v[64:67], v17 offset:22016                    // 00000000816C: D9FE5600 40000011
	v_mfma_f32_16x16x16_bf16 a[208:211], a[152:153], v[74:75], a[208:211]// 000000008174: D3E180D0 0F429598
	buffer_atomic_add_f32 v138, v7, s[32:35], 0 offen offset:128// 00000000817C: E1341080 80088A07
	v_mfma_f32_16x16x16_bf16 a[212:215], a[154:155], v[74:75], a[212:215]// 000000008184: D3E180D4 0F52959A
	ds_read_b128 v[68:71], v17 offset:23168                    // 00000000818C: D9FE5A80 44000011
	v_mfma_f32_16x16x16_bf16 a[216:219], a[156:157], v[74:75], a[216:219]// 000000008194: D3E180D8 0F62959C
	v_mfma_f32_16x16x16_bf16 a[220:223], a[158:159], v[74:75], a[220:223]// 00000000819C: D3E180DC 0F72959E
	ds_write_b32 v13, v88 offset:13056                         // 0000000081A4: D81A3300 0000580D
	v_mfma_f32_16x16x16_bf16 a[224:227], a[144:145], v[76:77], a[224:227]// 0000000081AC: D3E180E0 0F829990
	v_mfma_f32_16x16x16_bf16 a[228:231], a[146:147], v[76:77], a[228:231]// 0000000081B4: D3E180E4 0F929992
	ds_write_b32 v13, v89 offset:14112                         // 0000000081BC: D81A3720 0000590D
	v_mfma_f32_16x16x16_bf16 a[232:235], a[148:149], v[76:77], a[232:235]// 0000000081C4: D3E180E8 0FA29994
	buffer_atomic_add_f32 v139, v8, s[32:35], 0 offen offset:128// 0000000081CC: E1341080 80088B08
	v_mfma_f32_16x16x16_bf16 a[236:239], a[150:151], v[76:77], a[236:239]// 0000000081D4: D3E180EC 0FB29996
	ds_write_b32 v13, v90 offset:13184                         // 0000000081DC: D81A3380 00005A0D
	v_mfma_f32_16x16x16_bf16 a[240:243], a[152:153], v[76:77], a[240:243]// 0000000081E4: D3E180F0 0FC29998
	v_mfma_f32_16x16x16_bf16 a[244:247], a[154:155], v[76:77], a[244:247]// 0000000081EC: D3E180F4 0FD2999A
	ds_write_b32 v13, v91 offset:14240                         // 0000000081F4: D81A37A0 00005B0D
	v_mfma_f32_16x16x16_bf16 a[248:251], a[156:157], v[76:77], a[248:251]// 0000000081FC: D3E180F8 0FE2999C
	v_mfma_f32_16x16x16_bf16 a[252:255], a[158:159], v[76:77], a[252:255]// 000000008204: D3E180FC 0FF2999E
	s_waitcnt vmcnt(8) lgkmcnt(4)                              // 00000000820C: BF8C0478
	s_barrier                                                  // 000000008210: BF8A0000
	v_mfma_f32_16x16x16_bf16 v[128:131], v[48:49], a[48:49], 0 // 000000008214: D3E10080 12026130
	v_cmp_eq_u32_e32 vcc, v124, v151                           // 00000000821C: 7D952F7C
	v_mov_b32_e32 v28, 0                                       // 000000008220: 7E380280
	v_cndmask_b32_e32 v124, v124, v28, vcc                     // 000000008224: 00F8397C
	v_mul_f32_e32 v124, s48, v124                              // 000000008228: 0AF8F830
	s_nop 0                                                    // 00000000822C: BF800000
	v_mfma_f32_16x16x16_bf16 v[128:131], v[50:51], a[52:53], v[128:131]// 000000008230: D3E10080 16026932
	ds_read_b128 a[144:147], v10                               // 000000008238: DBFE0000 9000000A
	v_mov_b32_e32 v32, 0                                       // 000000008240: 7E400280
	s_mov_b64 exec, s[88:89]                                   // 000000008244: BEFE0158
	buffer_load_dword v32, v1, s[8:11], 0 idxen                // 000000008248: E0502000 80022001
	s_mov_b64 exec, s[86:87]                                   // 000000008250: BEFE0156
	v_mfma_f32_16x16x16_bf16 v[128:131], v[52:53], a[56:57], v[128:131]// 000000008254: D3E10080 16027134
	v_mfma_f32_16x16x16_bf16 v[128:131], v[54:55], a[60:61], v[128:131]// 00000000825C: D3E10080 16027936
	ds_read_b128 a[148:151], v10 offset:512                    // 000000008264: DBFE0200 9400000A
	v_mov_b32_e32 v33, 0                                       // 00000000826C: 7E420280
	s_mov_b64 exec, s[88:89]                                   // 000000008270: BEFE0158
	buffer_load_dword v33, v2, s[8:11], 0 idxen                // 000000008274: E0502000 80022102
	s_mov_b64 exec, s[86:87]                                   // 00000000827C: BEFE0156
	v_mfma_f32_16x16x16_bf16 v[128:131], v[56:57], a[64:65], v[128:131]// 000000008280: D3E10080 16028138
	v_perm_b32 v84, v37, v36, s63                              // 000000008288: D1ED0054 00FE4925
	v_perm_b32 v85, v37, v36, s64                              // 000000008290: D1ED0055 01024925
	v_mfma_f32_16x16x16_bf16 v[128:131], v[58:59], a[68:69], v[128:131]// 000000008298: D3E10080 1602893A
	ds_read_b128 a[152:155], v10 offset:2176                   // 0000000082A0: DBFE0880 9800000A
	v_mov_b32_e32 v34, 0                                       // 0000000082A8: 7E440280
	s_mov_b64 exec, s[88:89]                                   // 0000000082AC: BEFE0158
	buffer_load_dword v34, v3, s[8:11], 0 idxen                // 0000000082B0: E0502000 80022203
	s_mov_b64 exec, s[86:87]                                   // 0000000082B8: BEFE0156
	v_mfma_f32_16x16x16_bf16 v[128:131], v[60:61], a[72:73], v[128:131]// 0000000082BC: D3E10080 1602913C
	v_perm_b32 v86, v39, v38, s63                              // 0000000082C4: D1ED0056 00FE4D27
	v_perm_b32 v87, v39, v38, s64                              // 0000000082CC: D1ED0057 01024D27
	v_mfma_f32_16x16x16_bf16 v[128:131], v[62:63], a[76:77], v[128:131]// 0000000082D4: D3E10080 1602993E
	ds_read_b128 a[156:159], v10 offset:2688                   // 0000000082DC: DBFE0A80 9C00000A
	v_mov_b32_e32 v35, 0                                       // 0000000082E4: 7E460280
	s_mov_b64 exec, s[88:89]                                   // 0000000082E8: BEFE0158
	buffer_load_dword v35, v4, s[8:11], 0 idxen                // 0000000082EC: E0502000 80022304
	s_mov_b64 exec, s[86:87]                                   // 0000000082F4: BEFE0156
	v_mfma_f32_16x16x16_bf16 v[128:131], v[64:65], a[80:81], v[128:131]// 0000000082F8: D3E10080 1602A140
	v_perm_b32 v88, v45, v44, s63                              // 000000008300: D1ED0058 00FE592D
	v_perm_b32 v89, v45, v44, s64                              // 000000008308: D1ED0059 0102592D
	v_mfma_f32_16x16x16_bf16 v[128:131], v[66:67], a[84:85], v[128:131]// 000000008310: D3E10080 1602A942
	ds_read_b128 v[92:95], v10 offset:8704                     // 000000008318: D9FE2200 5C00000A
	v_mov_b32_e32 v40, 0                                       // 000000008320: 7E500280
	s_mov_b64 exec, s[88:89]                                   // 000000008324: BEFE0158
	buffer_load_dword v40, v252, s[20:23], 0 idxen             // 000000008328: E0502000 800528FC
	s_mov_b64 exec, s[86:87]                                   // 000000008330: BEFE0156
	v_mfma_f32_16x16x16_bf16 v[128:131], v[68:69], a[88:89], v[128:131]// 000000008334: D3E10080 1602B144
	v_perm_b32 v90, v47, v46, s63                              // 00000000833C: D1ED005A 00FE5D2F
	v_perm_b32 v91, v47, v46, s64                              // 000000008344: D1ED005B 01025D2F
	v_mfma_f32_16x16x16_bf16 v[128:131], v[70:71], a[92:93], v[128:131]// 00000000834C: D3E10080 1602B946
	ds_read_b128 v[96:99], v10 offset:9216                     // 000000008354: D9FE2400 6000000A
	v_mov_b32_e32 v41, 0                                       // 00000000835C: 7E520280
	s_mov_b64 exec, s[88:89]                                   // 000000008360: BEFE0158
	buffer_load_dword v41, v253, s[20:23], 0 idxen             // 000000008364: E0502000 800529FD
	s_mov_b64 exec, s[86:87]                                   // 00000000836C: BEFE0156
	v_mfma_f32_16x16x16_bf16 v[132:135], v[48:49], a[50:51], 0 // 000000008370: D3E10084 12026530
	v_mov_b32_dpp v127, v124 quad_perm:[3,3,3,3] row_mask:0xf bank_mask:0xf// 000000008378: 7EFE02FA FF00FF7C
	v_mov_b32_dpp v126, v124 quad_perm:[2,2,2,2] row_mask:0xf bank_mask:0xf// 000000008380: 7EFC02FA FF00AA7C
	v_mfma_f32_16x16x16_bf16 v[132:135], v[50:51], a[54:55], v[132:135]// 000000008388: D3E10084 16126D32
	ds_read_b128 v[100:103], v10 offset:10880                  // 000000008390: D9FE2A80 6400000A
	v_mov_b32_e32 v42, 0                                       // 000000008398: 7E540280
	s_mov_b64 exec, s[88:89]                                   // 00000000839C: BEFE0158
	buffer_load_dword v42, v254, s[20:23], 0 idxen             // 0000000083A0: E0502000 80052AFE
	s_mov_b64 exec, s[86:87]                                   // 0000000083A8: BEFE0156
	v_mfma_f32_16x16x16_bf16 v[132:135], v[52:53], a[58:59], v[132:135]// 0000000083AC: D3E10084 16127534
	v_mov_b32_dpp v125, v124 quad_perm:[1,1,1,1] row_mask:0xf bank_mask:0xf// 0000000083B4: 7EFA02FA FF00557C
	v_mov_b32_dpp v124, v124 quad_perm:[0,0,0,0] row_mask:0xf bank_mask:0xf// 0000000083BC: 7EF802FA FF00007C
	s_add_u32 s60, 64, s59                                     // 0000000083C4: 803C3BC0
	v_mfma_f32_16x16x16_bf16 v[132:135], v[54:55], a[62:63], v[132:135]// 0000000083C8: D3E10084 16127D36
	ds_read_b128 v[104:107], v10 offset:11392                  // 0000000083D0: D9FE2C80 6800000A
	v_mov_b32_e32 v43, 0                                       // 0000000083D8: 7E560280
	s_mov_b64 exec, s[88:89]                                   // 0000000083DC: BEFE0158
	buffer_load_dword v43, v255, s[20:23], 0 idxen             // 0000000083E0: E0502000 80052BFF
	s_mov_b64 exec, s[86:87]                                   // 0000000083E8: BEFE0156
	v_mfma_f32_16x16x16_bf16 v[132:135], v[56:57], a[66:67], v[132:135]// 0000000083EC: D3E10084 16128538
	s_cmp_lt_u32 s60, s58                                      // 0000000083F4: BF0A3A3C
	s_cselect_b32 s68, s68, 0                                  // 0000000083F8: 85448044
	s_cselect_b32 s97, s97, 0                                  // 0000000083FC: 85618061
	s_cselect_b32 s69, s69, 0                                  // 000000008400: 85458045
	v_mfma_f32_16x16x16_bf16 v[132:135], v[58:59], a[70:71], v[132:135]// 000000008404: D3E10084 16128D3A
	buffer_load_dword v9, s[24:27], 0 idxen lds                // 00000000840C: E0512000 80060009
	v_mfma_f32_16x16x16_bf16 v[132:135], v[60:61], a[74:75], v[132:135]// 000000008414: D3E10084 1612953C
	v_add_u32_e32 v1, s68, v1                                  // 00000000841C: 68020244
	v_add_u32_e32 v2, s68, v2                                  // 000000008420: 68040444
	v_add_u32_e32 v3, s68, v3                                  // 000000008424: 68060644
	;; [unrolled: 1-line block ×3, first 2 shown]
	v_mfma_f32_16x16x16_bf16 v[132:135], v[62:63], a[78:79], v[132:135]// 00000000842C: D3E10084 16129D3E
	v_add_u32_e32 v252, s97, v252                              // 000000008434: 69F9F861
	v_add_u32_e32 v253, s97, v253                              // 000000008438: 69FBFA61
	v_add_u32_e32 v254, s97, v254                              // 00000000843C: 69FDFC61
	v_add_u32_e32 v255, s97, v255                              // 000000008440: 69FFFE61
	v_mfma_f32_16x16x16_bf16 v[132:135], v[64:65], a[82:83], v[132:135]// 000000008444: D3E10084 1612A540
	s_mov_b32 m0, s77                                          // 00000000844C: BEFC004D
	v_add_u32_e32 v9, s69, v9                                  // 000000008450: 68121245
	v_mfma_f32_16x16x16_bf16 v[132:135], v[66:67], a[86:87], v[132:135]// 000000008454: D3E10084 1612AD42
	s_cmp_ge_u32 s59, s101                                     // 00000000845C: BF09653B
	s_cselect_b32 s66, s67, s66                                // 000000008460: 85424243
	v_mfma_f32_16x16x16_bf16 v[132:135], v[68:69], a[90:91], v[132:135]// 000000008464: D3E10084 1612B544
	s_addk_i32 s59, 0x10                                       // 00000000846C: B73B0010
	s_nop 0                                                    // 000000008470: BF800000
	s_cmp_lt_i32 s59, s58                                      // 000000008474: BF043A3B
	v_mfma_f32_16x16x16_bf16 v[132:135], v[70:71], a[94:95], v[132:135]// 000000008478: D3E10084 1612BD46
	s_cbranch_scc0 label_11AE                                  // 000000008480: BF840001
	s_branch label_09CF                                        // 000000008484: BF82F82D

0000000000008488 <label_11AE>:
	s_nop 0                                                    // 000000008488: BF800000
	s_nop 0                                                    // 00000000848C: BF800000
	s_branch label_1990                                        // 000000008490: BF8207D3

0000000000008494 <label_11B1>:
	s_waitcnt lgkmcnt(0)                                       // 000000008494: BF8CC07F
	s_barrier                                                  // 000000008498: BF8A0000
	v_mfma_f32_16x16x16_bf16 v[48:51], a[144:145], a[0:1], 0   // 00000000849C: D3E10030 1A020190
	v_mul_f32_e32 v128, s47, v128                              // 0000000084A4: 0B01002F
	v_mul_f32_e32 v129, s47, v129                              // 0000000084A8: 0B03022F
	v_mfma_f32_16x16x16_bf16 v[48:51], a[146:147], a[2:3], v[48:51]// 0000000084AC: D3E10030 1CC20592
	ds_write_b32 v11, v44 offset:8704                          // 0000000084B4: D81A2200 00002C0B
	ds_write_b32 v11, v45 offset:9760                          // 0000000084BC: D81A2620 00002D0B
	v_mfma_f32_16x16x16_bf16 v[48:51], a[148:149], a[4:5], v[48:51]// 0000000084C4: D3E10030 1CC20994
	v_mul_f32_e32 v130, s47, v130                              // 0000000084CC: 0B05042F
	v_mul_f32_e32 v131, s47, v131                              // 0000000084D0: 0B07062F
	v_mfma_f32_16x16x16_bf16 v[48:51], a[150:151], a[6:7], v[48:51]// 0000000084D4: D3E10030 1CC20D96
	ds_write_b32 v11, v46 offset:8832                          // 0000000084DC: D81A2280 00002E0B
	ds_write_b32 v11, v47 offset:9888                          // 0000000084E4: D81A26A0 00002F0B
	v_mfma_f32_16x16x16_bf16 v[48:51], a[152:153], a[8:9], v[48:51]// 0000000084EC: D3E10030 1CC21198
	v_mul_f32_e32 v132, s47, v132                              // 0000000084F4: 0B09082F
	v_mul_f32_e32 v133, s47, v133                              // 0000000084F8: 0B0B0A2F
	v_mfma_f32_16x16x16_bf16 v[48:51], a[154:155], a[10:11], v[48:51]// 0000000084FC: D3E10030 1CC2159A
	ds_write_b64 v20, v[128:129] offset:24320                  // 000000008504: D89A5F00 00008014
	v_mfma_f32_16x16x16_bf16 v[48:51], a[156:157], a[12:13], v[48:51]// 00000000850C: D3E10030 1CC2199C
	v_mul_f32_e32 v134, s47, v134                              // 000000008514: 0B0D0C2F
	v_mul_f32_e32 v135, s47, v135                              // 000000008518: 0B0F0E2F
	v_mfma_f32_16x16x16_bf16 v[48:51], a[158:159], a[14:15], v[48:51]// 00000000851C: D3E10030 1CC21D9E
	ds_write_b64 v20, v[130:131] offset:24832                  // 000000008524: D89A6100 00008214
	v_mfma_f32_16x16x16_bf16 v[52:55], a[144:145], a[16:17], 0 // 00000000852C: D3E10034 1A022190
	buffer_atomic_add_f32 v140, v7, s[32:35], 0 offen offset:256// 000000008534: E1341100 80088C07
	v_mfma_f32_16x16x16_bf16 v[52:55], a[146:147], a[18:19], v[52:55]// 00000000853C: D3E10034 1CD22592
	ds_write_b64 v20, v[132:133] offset:25344                  // 000000008544: D89A6300 00008414
	v_mfma_f32_16x16x16_bf16 v[52:55], a[148:149], a[20:21], v[52:55]// 00000000854C: D3E10034 1CD22994
	v_mfma_f32_16x16x16_bf16 v[52:55], a[150:151], a[22:23], v[52:55]// 000000008554: D3E10034 1CD22D96
	ds_write_b64 v20, v[134:135] offset:25856                  // 00000000855C: D89A6500 00008614
	v_mfma_f32_16x16x16_bf16 v[52:55], a[152:153], a[24:25], v[52:55]// 000000008564: D3E10034 1CD23198
	buffer_atomic_add_f32 v141, v8, s[32:35], 0 offen offset:256// 00000000856C: E1341100 80088D08
	v_mfma_f32_16x16x16_bf16 v[52:55], a[154:155], a[26:27], v[52:55]// 000000008574: D3E10034 1CD2359A
	ds_read_b128 v[108:111], v12 offset:13056                  // 00000000857C: D9FE3300 6C00000C
	ds_write_b32 v11, v36                                      // 000000008584: D81A0000 0000240B
	v_mfma_f32_16x16x16_bf16 v[52:55], a[156:157], a[28:29], v[52:55]// 00000000858C: D3E10034 1CD2399C
	v_mfma_f32_16x16x16_bf16 v[52:55], a[158:159], a[30:31], v[52:55]// 000000008594: D3E10034 1CD23D9E
	v_mfma_f32_16x16x16_bf16 v[56:59], a[144:145], a[32:33], 0 // 00000000859C: D3E10038 1A024190
	ds_read_b128 v[112:115], v12 offset:13568                  // 0000000085A4: D9FE3500 7000000C
	ds_write_b32 v11, v37 offset:1056                          // 0000000085AC: D81A0420 0000250B
	v_mfma_f32_16x16x16_bf16 v[56:59], a[146:147], a[34:35], v[56:59]// 0000000085B4: D3E10038 1CE24592
	buffer_atomic_add_f32 v142, v7, s[32:35], 0 offen offset:384// 0000000085BC: E1341180 80088E07
	v_mfma_f32_16x16x16_bf16 v[56:59], a[148:149], a[36:37], v[56:59]// 0000000085C4: D3E10038 1CE24994
	v_mfma_f32_16x16x16_bf16 v[56:59], a[150:151], a[38:39], v[56:59]// 0000000085CC: D3E10038 1CE24D96
	ds_read_b128 v[116:119], v12 offset:15232                  // 0000000085D4: D9FE3B80 7400000C
	ds_write_b32 v11, v38 offset:128                           // 0000000085DC: D81A0080 0000260B
	v_mfma_f32_16x16x16_bf16 v[56:59], a[152:153], a[40:41], v[56:59]// 0000000085E4: D3E10038 1CE25198
	v_mfma_f32_16x16x16_bf16 v[56:59], a[154:155], a[42:43], v[56:59]// 0000000085EC: D3E10038 1CE2559A
	buffer_atomic_add_f32 v143, v8, s[32:35], 0 offen offset:384// 0000000085F4: E1341180 80088F08
	v_mfma_f32_16x16x16_bf16 v[56:59], a[156:157], a[44:45], v[56:59]// 0000000085FC: D3E10038 1CE2599C
	ds_read_b128 v[120:123], v12 offset:15744                  // 000000008604: D9FE3D80 7800000C
	ds_write_b32 v11, v39 offset:1184                          // 00000000860C: D81A04A0 0000270B
	v_mfma_f32_16x16x16_bf16 v[56:59], a[158:159], a[46:47], v[56:59]// 000000008614: D3E10038 1CE25D9E
	s_add_i32 s82, s59, s99                                    // 00000000861C: 8152633B
	s_sub_i32 s82, s82, 1                                      // 000000008620: 81D28152
	s_add_i32 s81, s59, 16                                     // 000000008624: 8151903B
	s_sub_i32 s81, s81, s100                                   // 000000008628: 81D16451
	s_add_i32 s81, s81, 1                                      // 00000000862C: 81518151
	s_branch label_1219                                        // 000000008630: BF820000

0000000000008634 <label_1219>:
	s_add_i32 s62, 0, s46                                      // 000000008634: 813E2E80
	s_mul_i32 s62, s62, 16                                     // 000000008638: 923E903E
	s_add_i32 s62, s80, s62                                    // 00000000863C: 813E3E50
	s_add_i32 s61, s62, 16                                     // 000000008640: 813D903E
	s_add_i32 s61, s61, 16                                     // 000000008644: 813D903D
	s_cmp_lt_i32 s61, s81                                      // 000000008648: BF04513D
	s_cselect_b32 s60, 1, 0                                    // 00000000864C: 853C8081
	s_sub_i32 s62, s62, 16                                     // 000000008650: 81BE903E
	s_cmp_gt_i32 s62, s82                                      // 000000008654: BF02523E
	s_cselect_b32 s61, 1, 0                                    // 000000008658: 853D8081
	s_or_b32 s60, s60, s61                                     // 00000000865C: 873C3D3C
	s_cmp_eq_i32 s60, 1                                        // 000000008660: BF00813C
	s_cbranch_scc1 label_12AC                                  // 000000008664: BF850085
	s_add_i32 s61, s62, 32                                     // 000000008668: 813DA03E
	s_add_i32 s62, s62, 16                                     // 00000000866C: 813E903E
	s_cmp_lt_i32 s62, s81                                      // 000000008670: BF04513E
	s_cselect_b32 s60, 1, 0                                    // 000000008674: 853C8081
	s_cmp_gt_i32 s61, s82                                      // 000000008678: BF02523D
	s_cselect_b32 s61, 1, 0                                    // 00000000867C: 853D8081
	s_or_b32 s60, s60, s61                                     // 000000008680: 873C3D3C
	s_cmp_eq_i32 s60, 1                                        // 000000008684: BF00813C
	s_cbranch_scc1 label_125F                                  // 000000008688: BF85002F
	s_branch label_1230                                        // 00000000868C: BF820000

0000000000008690 <label_1230>:
	s_add_i32 s62, 4, s46                                      // 000000008690: 813E2E84
	s_mul_i32 s62, s62, 16                                     // 000000008694: 923E903E
	s_add_i32 s62, s80, s62                                    // 000000008698: 813E3E50
	s_add_i32 s61, s62, 16                                     // 00000000869C: 813D903E
	s_add_i32 s61, s61, 16                                     // 0000000086A0: 813D903D
	s_cmp_lt_i32 s61, s81                                      // 0000000086A4: BF04513D
	s_cselect_b32 s60, 1, 0                                    // 0000000086A8: 853C8081
	s_sub_i32 s62, s62, 16                                     // 0000000086AC: 81BE903E
	s_cmp_gt_i32 s62, s82                                      // 0000000086B0: BF02523E
	s_cselect_b32 s61, 1, 0                                    // 0000000086B4: 853D8081
	s_or_b32 s60, s60, s61                                     // 0000000086B8: 873C3D3C
	s_cmp_eq_i32 s60, 1                                        // 0000000086BC: BF00813C
	s_cbranch_scc1 label_12FE                                  // 0000000086C0: BF8500C0
	s_add_i32 s61, s62, 32                                     // 0000000086C4: 813DA03E
	s_add_i32 s62, s62, 16                                     // 0000000086C8: 813E903E
	s_cmp_lt_i32 s62, s81                                      // 0000000086CC: BF04513E
	s_cselect_b32 s60, 1, 0                                    // 0000000086D0: 853C8081
	s_cmp_gt_i32 s61, s82                                      // 0000000086D4: BF02523D
	s_cselect_b32 s61, 1, 0                                    // 0000000086D8: 853D8081
	s_or_b32 s60, s60, s61                                     // 0000000086DC: 873C3D3C
	s_cmp_eq_i32 s60, 1                                        // 0000000086E0: BF00813C
	s_cbranch_scc1 label_12B1                                  // 0000000086E4: BF85006A
	s_branch label_1247                                        // 0000000086E8: BF820000

00000000000086ec <label_1247>:
	s_add_i32 s62, 8, s46                                      // 0000000086EC: 813E2E88
	s_mul_i32 s62, s62, 16                                     // 0000000086F0: 923E903E
	s_add_i32 s62, s80, s62                                    // 0000000086F4: 813E3E50
	s_add_i32 s61, s62, 16                                     // 0000000086F8: 813D903E
	s_add_i32 s61, s61, 16                                     // 0000000086FC: 813D903D
	s_cmp_lt_i32 s61, s81                                      // 000000008700: BF04513D
	s_cselect_b32 s60, 1, 0                                    // 000000008704: 853C8081
	s_sub_i32 s62, s62, 16                                     // 000000008708: 81BE903E
	s_cmp_gt_i32 s62, s82                                      // 00000000870C: BF02523E
	s_cselect_b32 s61, 1, 0                                    // 000000008710: 853D8081
	s_or_b32 s60, s60, s61                                     // 000000008714: 873C3D3C
	s_cmp_eq_i32 s60, 1                                        // 000000008718: BF00813C
	s_cbranch_scc1 label_1350                                  // 00000000871C: BF8500FB
	s_add_i32 s61, s62, 32                                     // 000000008720: 813DA03E
	s_add_i32 s62, s62, 16                                     // 000000008724: 813E903E
	s_cmp_lt_i32 s62, s81                                      // 000000008728: BF04513E
	s_cselect_b32 s60, 1, 0                                    // 00000000872C: 853C8081
	s_cmp_gt_i32 s61, s82                                      // 000000008730: BF02523D
	s_cselect_b32 s61, 1, 0                                    // 000000008734: 853D8081
	s_or_b32 s60, s60, s61                                     // 000000008738: 873C3D3C
	s_cmp_eq_i32 s60, 1                                        // 00000000873C: BF00813C
	s_cbranch_scc1 label_1303                                  // 000000008740: BF8500A5
	s_branch label_1355                                        // 000000008744: BF8200F6

0000000000008748 <label_125F>:
	v_and_b32_e32 v28, 15, v0                                  // 000000008748: 2638008F
	v_add_u32_e32 v28, s62, v28                                // 00000000874C: 6838383E
	v_lshrrev_b32_e32 v29, 4, v0                               // 000000008750: 203A0084
	v_lshlrev_b32_e32 v29, 2, v29                              // 000000008754: 243A3A82
	v_add_i32 v29, 0, v29                                      // 000000008758: D29C001D 00023A80
	v_add_i32 v29, s59, v29                                    // 000000008760: D29C001D 00023A3B
	v_sub_i32 v29, v29, v28                                    // 000000008768: D29D001D 0002391D
	v_cmp_ge_i32_e64 vcc, v29, s100                            // 000000008770: D0C6006A 0000C91D
	v_sub_i32 v29, 0, v29                                      // 000000008778: D29D001D 00023A80
	v_cndmask_b32_e32 v48, v48, v151, vcc                      // 000000008780: 00612F30
	v_cmp_ge_i32_e64 vcc, v29, s99                             // 000000008784: D0C6006A 0000C71D
	s_nop 1                                                    // 00000000878C: BF800001
	v_cndmask_b32_e32 v48, v48, v151, vcc                      // 000000008790: 00612F30
	v_and_b32_e32 v28, 15, v0                                  // 000000008794: 2638008F
	v_add_u32_e32 v28, s62, v28                                // 000000008798: 6838383E
	v_lshrrev_b32_e32 v29, 4, v0                               // 00000000879C: 203A0084
	v_lshlrev_b32_e32 v29, 2, v29                              // 0000000087A0: 243A3A82
	v_add_i32 v29, 1, v29                                      // 0000000087A4: D29C001D 00023A81
	v_add_i32 v29, s59, v29                                    // 0000000087AC: D29C001D 00023A3B
	v_sub_i32 v29, v29, v28                                    // 0000000087B4: D29D001D 0002391D
	v_cmp_ge_i32_e64 vcc, v29, s100                            // 0000000087BC: D0C6006A 0000C91D
	v_sub_i32 v29, 0, v29                                      // 0000000087C4: D29D001D 00023A80
	v_cndmask_b32_e32 v49, v49, v151, vcc                      // 0000000087CC: 00632F31
	v_cmp_ge_i32_e64 vcc, v29, s99                             // 0000000087D0: D0C6006A 0000C71D
	s_nop 1                                                    // 0000000087D8: BF800001
	v_cndmask_b32_e32 v49, v49, v151, vcc                      // 0000000087DC: 00632F31
	v_and_b32_e32 v28, 15, v0                                  // 0000000087E0: 2638008F
	v_add_u32_e32 v28, s62, v28                                // 0000000087E4: 6838383E
	v_lshrrev_b32_e32 v29, 4, v0                               // 0000000087E8: 203A0084
	v_lshlrev_b32_e32 v29, 2, v29                              // 0000000087EC: 243A3A82
	v_add_i32 v29, 2, v29                                      // 0000000087F0: D29C001D 00023A82
	v_add_i32 v29, s59, v29                                    // 0000000087F8: D29C001D 00023A3B
	v_sub_i32 v29, v29, v28                                    // 000000008800: D29D001D 0002391D
	v_cmp_ge_i32_e64 vcc, v29, s100                            // 000000008808: D0C6006A 0000C91D
	v_sub_i32 v29, 0, v29                                      // 000000008810: D29D001D 00023A80
	v_cndmask_b32_e32 v50, v50, v151, vcc                      // 000000008818: 00652F32
	v_cmp_ge_i32_e64 vcc, v29, s99                             // 00000000881C: D0C6006A 0000C71D
	s_nop 1                                                    // 000000008824: BF800001
	v_cndmask_b32_e32 v50, v50, v151, vcc                      // 000000008828: 00652F32
	v_and_b32_e32 v28, 15, v0                                  // 00000000882C: 2638008F
	v_add_u32_e32 v28, s62, v28                                // 000000008830: 6838383E
	v_lshrrev_b32_e32 v29, 4, v0                               // 000000008834: 203A0084
	v_lshlrev_b32_e32 v29, 2, v29                              // 000000008838: 243A3A82
	v_add_i32 v29, 3, v29                                      // 00000000883C: D29C001D 00023A83
	v_add_i32 v29, s59, v29                                    // 000000008844: D29C001D 00023A3B
	v_sub_i32 v29, v29, v28                                    // 00000000884C: D29D001D 0002391D
	v_cmp_ge_i32_e64 vcc, v29, s100                            // 000000008854: D0C6006A 0000C91D
	v_sub_i32 v29, 0, v29                                      // 00000000885C: D29D001D 00023A80
	v_cndmask_b32_e32 v51, v51, v151, vcc                      // 000000008864: 00672F33
	v_cmp_ge_i32_e64 vcc, v29, s99                             // 000000008868: D0C6006A 0000C71D
	s_nop 1                                                    // 000000008870: BF800001
	v_cndmask_b32_e32 v51, v51, v151, vcc                      // 000000008874: 00672F33
	s_branch label_1230                                        // 000000008878: BF82FF85

000000000000887c <label_12AC>:
	v_mov_b32_e32 v48, v151                                    // 00000000887C: 7E600397
	v_mov_b32_e32 v49, v151                                    // 000000008880: 7E620397
	v_mov_b32_e32 v50, v151                                    // 000000008884: 7E640397
	v_mov_b32_e32 v51, v151                                    // 000000008888: 7E660397
	s_branch label_1230                                        // 00000000888C: BF82FF80

0000000000008890 <label_12B1>:
	v_and_b32_e32 v28, 15, v0                                  // 000000008890: 2638008F
	v_add_u32_e32 v28, s62, v28                                // 000000008894: 6838383E
	v_lshrrev_b32_e32 v29, 4, v0                               // 000000008898: 203A0084
	v_lshlrev_b32_e32 v29, 2, v29                              // 00000000889C: 243A3A82
	v_add_i32 v29, 0, v29                                      // 0000000088A0: D29C001D 00023A80
	v_add_i32 v29, s59, v29                                    // 0000000088A8: D29C001D 00023A3B
	v_sub_i32 v29, v29, v28                                    // 0000000088B0: D29D001D 0002391D
	v_cmp_ge_i32_e64 vcc, v29, s100                            // 0000000088B8: D0C6006A 0000C91D
	v_sub_i32 v29, 0, v29                                      // 0000000088C0: D29D001D 00023A80
	v_cndmask_b32_e32 v52, v52, v151, vcc                      // 0000000088C8: 00692F34
	v_cmp_ge_i32_e64 vcc, v29, s99                             // 0000000088CC: D0C6006A 0000C71D
	s_nop 1                                                    // 0000000088D4: BF800001
	v_cndmask_b32_e32 v52, v52, v151, vcc                      // 0000000088D8: 00692F34
	v_and_b32_e32 v28, 15, v0                                  // 0000000088DC: 2638008F
	v_add_u32_e32 v28, s62, v28                                // 0000000088E0: 6838383E
	v_lshrrev_b32_e32 v29, 4, v0                               // 0000000088E4: 203A0084
	v_lshlrev_b32_e32 v29, 2, v29                              // 0000000088E8: 243A3A82
	v_add_i32 v29, 1, v29                                      // 0000000088EC: D29C001D 00023A81
	v_add_i32 v29, s59, v29                                    // 0000000088F4: D29C001D 00023A3B
	v_sub_i32 v29, v29, v28                                    // 0000000088FC: D29D001D 0002391D
	v_cmp_ge_i32_e64 vcc, v29, s100                            // 000000008904: D0C6006A 0000C91D
	v_sub_i32 v29, 0, v29                                      // 00000000890C: D29D001D 00023A80
	v_cndmask_b32_e32 v53, v53, v151, vcc                      // 000000008914: 006B2F35
	v_cmp_ge_i32_e64 vcc, v29, s99                             // 000000008918: D0C6006A 0000C71D
	s_nop 1                                                    // 000000008920: BF800001
	v_cndmask_b32_e32 v53, v53, v151, vcc                      // 000000008924: 006B2F35
	v_and_b32_e32 v28, 15, v0                                  // 000000008928: 2638008F
	v_add_u32_e32 v28, s62, v28                                // 00000000892C: 6838383E
	v_lshrrev_b32_e32 v29, 4, v0                               // 000000008930: 203A0084
	v_lshlrev_b32_e32 v29, 2, v29                              // 000000008934: 243A3A82
	v_add_i32 v29, 2, v29                                      // 000000008938: D29C001D 00023A82
	v_add_i32 v29, s59, v29                                    // 000000008940: D29C001D 00023A3B
	v_sub_i32 v29, v29, v28                                    // 000000008948: D29D001D 0002391D
	v_cmp_ge_i32_e64 vcc, v29, s100                            // 000000008950: D0C6006A 0000C91D
	v_sub_i32 v29, 0, v29                                      // 000000008958: D29D001D 00023A80
	v_cndmask_b32_e32 v54, v54, v151, vcc                      // 000000008960: 006D2F36
	v_cmp_ge_i32_e64 vcc, v29, s99                             // 000000008964: D0C6006A 0000C71D
	s_nop 1                                                    // 00000000896C: BF800001
	v_cndmask_b32_e32 v54, v54, v151, vcc                      // 000000008970: 006D2F36
	v_and_b32_e32 v28, 15, v0                                  // 000000008974: 2638008F
	v_add_u32_e32 v28, s62, v28                                // 000000008978: 6838383E
	v_lshrrev_b32_e32 v29, 4, v0                               // 00000000897C: 203A0084
	v_lshlrev_b32_e32 v29, 2, v29                              // 000000008980: 243A3A82
	v_add_i32 v29, 3, v29                                      // 000000008984: D29C001D 00023A83
	v_add_i32 v29, s59, v29                                    // 00000000898C: D29C001D 00023A3B
	v_sub_i32 v29, v29, v28                                    // 000000008994: D29D001D 0002391D
	v_cmp_ge_i32_e64 vcc, v29, s100                            // 00000000899C: D0C6006A 0000C91D
	v_sub_i32 v29, 0, v29                                      // 0000000089A4: D29D001D 00023A80
	v_cndmask_b32_e32 v55, v55, v151, vcc                      // 0000000089AC: 006F2F37
	v_cmp_ge_i32_e64 vcc, v29, s99                             // 0000000089B0: D0C6006A 0000C71D
	s_nop 1                                                    // 0000000089B8: BF800001
	v_cndmask_b32_e32 v55, v55, v151, vcc                      // 0000000089BC: 006F2F37
	s_branch label_1247                                        // 0000000089C0: BF82FF4A

00000000000089c4 <label_12FE>:
	v_mov_b32_e32 v52, v151                                    // 0000000089C4: 7E680397
	v_mov_b32_e32 v53, v151                                    // 0000000089C8: 7E6A0397
	v_mov_b32_e32 v54, v151                                    // 0000000089CC: 7E6C0397
	v_mov_b32_e32 v55, v151                                    // 0000000089D0: 7E6E0397
	s_branch label_1247                                        // 0000000089D4: BF82FF45

00000000000089d8 <label_1303>:
	v_and_b32_e32 v28, 15, v0                                  // 0000000089D8: 2638008F
	v_add_u32_e32 v28, s62, v28                                // 0000000089DC: 6838383E
	v_lshrrev_b32_e32 v29, 4, v0                               // 0000000089E0: 203A0084
	v_lshlrev_b32_e32 v29, 2, v29                              // 0000000089E4: 243A3A82
	v_add_i32 v29, 0, v29                                      // 0000000089E8: D29C001D 00023A80
	v_add_i32 v29, s59, v29                                    // 0000000089F0: D29C001D 00023A3B
	v_sub_i32 v29, v29, v28                                    // 0000000089F8: D29D001D 0002391D
	v_cmp_ge_i32_e64 vcc, v29, s100                            // 000000008A00: D0C6006A 0000C91D
	v_sub_i32 v29, 0, v29                                      // 000000008A08: D29D001D 00023A80
	v_cndmask_b32_e32 v56, v56, v151, vcc                      // 000000008A10: 00712F38
	v_cmp_ge_i32_e64 vcc, v29, s99                             // 000000008A14: D0C6006A 0000C71D
	s_nop 1                                                    // 000000008A1C: BF800001
	v_cndmask_b32_e32 v56, v56, v151, vcc                      // 000000008A20: 00712F38
	v_and_b32_e32 v28, 15, v0                                  // 000000008A24: 2638008F
	v_add_u32_e32 v28, s62, v28                                // 000000008A28: 6838383E
	v_lshrrev_b32_e32 v29, 4, v0                               // 000000008A2C: 203A0084
	v_lshlrev_b32_e32 v29, 2, v29                              // 000000008A30: 243A3A82
	v_add_i32 v29, 1, v29                                      // 000000008A34: D29C001D 00023A81
	v_add_i32 v29, s59, v29                                    // 000000008A3C: D29C001D 00023A3B
	v_sub_i32 v29, v29, v28                                    // 000000008A44: D29D001D 0002391D
	v_cmp_ge_i32_e64 vcc, v29, s100                            // 000000008A4C: D0C6006A 0000C91D
	v_sub_i32 v29, 0, v29                                      // 000000008A54: D29D001D 00023A80
	v_cndmask_b32_e32 v57, v57, v151, vcc                      // 000000008A5C: 00732F39
	v_cmp_ge_i32_e64 vcc, v29, s99                             // 000000008A60: D0C6006A 0000C71D
	s_nop 1                                                    // 000000008A68: BF800001
	v_cndmask_b32_e32 v57, v57, v151, vcc                      // 000000008A6C: 00732F39
	v_and_b32_e32 v28, 15, v0                                  // 000000008A70: 2638008F
	v_add_u32_e32 v28, s62, v28                                // 000000008A74: 6838383E
	v_lshrrev_b32_e32 v29, 4, v0                               // 000000008A78: 203A0084
	v_lshlrev_b32_e32 v29, 2, v29                              // 000000008A7C: 243A3A82
	v_add_i32 v29, 2, v29                                      // 000000008A80: D29C001D 00023A82
	v_add_i32 v29, s59, v29                                    // 000000008A88: D29C001D 00023A3B
	v_sub_i32 v29, v29, v28                                    // 000000008A90: D29D001D 0002391D
	v_cmp_ge_i32_e64 vcc, v29, s100                            // 000000008A98: D0C6006A 0000C91D
	v_sub_i32 v29, 0, v29                                      // 000000008AA0: D29D001D 00023A80
	v_cndmask_b32_e32 v58, v58, v151, vcc                      // 000000008AA8: 00752F3A
	v_cmp_ge_i32_e64 vcc, v29, s99                             // 000000008AAC: D0C6006A 0000C71D
	s_nop 1                                                    // 000000008AB4: BF800001
	v_cndmask_b32_e32 v58, v58, v151, vcc                      // 000000008AB8: 00752F3A
	v_and_b32_e32 v28, 15, v0                                  // 000000008ABC: 2638008F
	v_add_u32_e32 v28, s62, v28                                // 000000008AC0: 6838383E
	v_lshrrev_b32_e32 v29, 4, v0                               // 000000008AC4: 203A0084
	v_lshlrev_b32_e32 v29, 2, v29                              // 000000008AC8: 243A3A82
	v_add_i32 v29, 3, v29                                      // 000000008ACC: D29C001D 00023A83
	v_add_i32 v29, s59, v29                                    // 000000008AD4: D29C001D 00023A3B
	v_sub_i32 v29, v29, v28                                    // 000000008ADC: D29D001D 0002391D
	v_cmp_ge_i32_e64 vcc, v29, s100                            // 000000008AE4: D0C6006A 0000C91D
	v_sub_i32 v29, 0, v29                                      // 000000008AEC: D29D001D 00023A80
	v_cndmask_b32_e32 v59, v59, v151, vcc                      // 000000008AF4: 00772F3B
	v_cmp_ge_i32_e64 vcc, v29, s99                             // 000000008AF8: D0C6006A 0000C71D
	s_nop 1                                                    // 000000008B00: BF800001
	v_cndmask_b32_e32 v59, v59, v151, vcc                      // 000000008B04: 00772F3B
	s_branch label_1355                                        // 000000008B08: BF820005

0000000000008b0c <label_1350>:
	v_mov_b32_e32 v56, v151                                    // 000000008B0C: 7E700397
	v_mov_b32_e32 v57, v151                                    // 000000008B10: 7E720397
	v_mov_b32_e32 v58, v151                                    // 000000008B14: 7E740397
	v_mov_b32_e32 v59, v151                                    // 000000008B18: 7E760397
	s_branch label_1355                                        // 000000008B1C: BF820000

0000000000008b20 <label_1355>:
	s_cmp_lt_i32 s94, 0xc0                                     // 000000008B20: BF04FF5E 000000C0
	s_cbranch_scc0 label_13AA                                  // 000000008B28: BF84004D
	s_cmp_le_i32 s94, 64                                       // 000000008B2C: BF05C05E
	s_cbranch_scc1 label_1361                                  // 000000008B30: BF850007
	s_cmp_le_i32 s94, 0x80                                     // 000000008B34: BF05FF5E 00000080
	s_cbranch_scc1 label_1379                                  // 000000008B3C: BF850017
	s_cmp_lt_i32 s94, 0xc0                                     // 000000008B40: BF04FF5E 000000C0
	s_cbranch_scc1 label_1391                                  // 000000008B48: BF85002C
	s_branch label_13AA                                        // 000000008B4C: BF820044

0000000000008b50 <label_1361>:
	s_mov_b32 s60, 0                                           // 000000008B50: BEBC0080
	v_and_b32_e32 v28, 15, v0                                  // 000000008B54: 2638008F
	v_add_u32_e64 v28, v28, s60                                // 000000008B58: D134001C 0000791C
	v_mul_i32_i24_e64 v29, s46, 16                             // 000000008B60: D106001D 0001202E
	v_add_u32_e32 v28, v28, v29                                // 000000008B68: 68383B1C
	v_cmp_lt_u32_e64 s[60:61], v28, s94                        // 000000008B6C: D0C9003C 0000BD1C
	s_nop 1                                                    // 000000008B74: BF800001
	v_cndmask_b32_e64 v48, v151, v48, s[60:61]                 // 000000008B78: D1000030 00F26197
	v_cndmask_b32_e64 v49, v151, v49, s[60:61]                 // 000000008B80: D1000031 00F26397
	v_cndmask_b32_e64 v50, v151, v50, s[60:61]                 // 000000008B88: D1000032 00F26597
	v_cndmask_b32_e64 v51, v151, v51, s[60:61]                 // 000000008B90: D1000033 00F26797
	s_branch label_138C                                        // 000000008B98: BF820013

0000000000008b9c <label_1379>:
	s_mov_b32 s60, 64                                          // 000000008B9C: BEBC00C0
	v_and_b32_e32 v28, 15, v0                                  // 000000008BA0: 2638008F
	v_add_u32_e64 v28, v28, s60                                // 000000008BA4: D134001C 0000791C
	v_mul_i32_i24_e64 v29, s46, 16                             // 000000008BAC: D106001D 0001202E
	v_add_u32_e32 v28, v28, v29                                // 000000008BB4: 68383B1C
	v_cmp_lt_u32_e64 s[60:61], v28, s94                        // 000000008BB8: D0C9003C 0000BD1C
	s_nop 1                                                    // 000000008BC0: BF800001
	v_cndmask_b32_e64 v52, v151, v52, s[60:61]                 // 000000008BC4: D1000034 00F26997
	v_cndmask_b32_e64 v53, v151, v53, s[60:61]                 // 000000008BCC: D1000035 00F26B97
	v_cndmask_b32_e64 v54, v151, v54, s[60:61]                 // 000000008BD4: D1000036 00F26D97
	v_cndmask_b32_e64 v55, v151, v55, s[60:61]                 // 000000008BDC: D1000037 00F26F97
	s_branch label_13A5                                        // 000000008BE4: BF820019

0000000000008be8 <label_138C>:
	v_mov_b32_e32 v52, v151                                    // 000000008BE8: 7E680397
	v_mov_b32_e32 v53, v151                                    // 000000008BEC: 7E6A0397
	v_mov_b32_e32 v54, v151                                    // 000000008BF0: 7E6C0397
	v_mov_b32_e32 v55, v151                                    // 000000008BF4: 7E6E0397
	s_branch label_13A5                                        // 000000008BF8: BF820014

0000000000008bfc <label_1391>:
	s_mov_b32 s60, 0x80                                        // 000000008BFC: BEBC00FF 00000080
	v_and_b32_e32 v28, 15, v0                                  // 000000008C04: 2638008F
	v_add_u32_e64 v28, v28, s60                                // 000000008C08: D134001C 0000791C
	v_mul_i32_i24_e64 v29, s46, 16                             // 000000008C10: D106001D 0001202E
	v_add_u32_e32 v28, v28, v29                                // 000000008C18: 68383B1C
	v_cmp_lt_u32_e64 s[60:61], v28, s94                        // 000000008C1C: D0C9003C 0000BD1C
	s_nop 1                                                    // 000000008C24: BF800001
	v_cndmask_b32_e64 v56, v151, v56, s[60:61]                 // 000000008C28: D1000038 00F27197
	v_cndmask_b32_e64 v57, v151, v57, s[60:61]                 // 000000008C30: D1000039 00F27397
	v_cndmask_b32_e64 v58, v151, v58, s[60:61]                 // 000000008C38: D100003A 00F27597
	v_cndmask_b32_e64 v59, v151, v59, s[60:61]                 // 000000008C40: D100003B 00F27797
	s_branch label_13AA                                        // 000000008C48: BF820005

0000000000008c4c <label_13A5>:
	v_mov_b32_e32 v56, v151                                    // 000000008C4C: 7E700397
	v_mov_b32_e32 v57, v151                                    // 000000008C50: 7E720397
	v_mov_b32_e32 v58, v151                                    // 000000008C54: 7E740397
	v_mov_b32_e32 v59, v151                                    // 000000008C58: 7E760397
	s_branch label_13AA                                        // 000000008C5C: BF820000

0000000000008c60 <label_13AA>:
	s_waitcnt lgkmcnt(8)                                       // 000000008C60: BF8CC87F
	s_barrier                                                  // 000000008C64: BF8A0000
	v_mfma_f32_16x16x16_bf16 v[72:75], v[92:93], a[96:97], 0   // 000000008C68: D3E10048 1202C15C
	v_fma_f32 v48, v48, s57, -v124                             // 000000008C70: D1CB0030 85F07330
	v_fma_f32 v49, v49, s57, -v125                             // 000000008C78: D1CB0031 85F47331
	v_fma_f32 v50, v50, s57, -v126                             // 000000008C80: D1CB0032 85F87332
	v_mfma_f32_16x16x16_bf16 v[72:75], v[94:95], a[98:99], v[72:75]// 000000008C88: D3E10048 1522C55E
	ds_read_b128 a[144:147], v12 offset:4352                   // 000000008C90: DBFE1100 9000000C
	ds_read_b128 a[148:151], v12 offset:4864                   // 000000008C98: DBFE1300 9400000C
	v_mfma_f32_16x16x16_bf16 v[72:75], v[96:97], a[100:101], v[72:75]// 000000008CA0: D3E10048 1522C960
	v_fma_f32 v51, v51, s57, -v127                             // 000000008CA8: D1CB0033 85FC7333
	v_fma_f32 v52, v52, s57, -v124                             // 000000008CB0: D1CB0034 85F07334
	v_fma_f32 v53, v53, s57, -v125                             // 000000008CB8: D1CB0035 85F47335
	v_mfma_f32_16x16x16_bf16 v[72:75], v[98:99], a[102:103], v[72:75]// 000000008CC0: D3E10048 1522CD62
	v_fma_f32 v54, v54, s57, -v126                             // 000000008CC8: D1CB0036 85F87336
	v_fma_f32 v55, v55, s57, -v127                             // 000000008CD0: D1CB0037 85FC7337
	v_fma_f32 v56, v56, s57, -v124                             // 000000008CD8: D1CB0038 85F07338
	v_mfma_f32_16x16x16_bf16 v[72:75], v[100:101], a[104:105], v[72:75]// 000000008CE0: D3E10048 1522D164
	v_fma_f32 v57, v57, s57, -v125                             // 000000008CE8: D1CB0039 85F47339
	v_fma_f32 v58, v58, s57, -v126                             // 000000008CF0: D1CB003A 85F8733A
	v_fma_f32 v59, v59, s57, -v127                             // 000000008CF8: D1CB003B 85FC733B
	v_mfma_f32_16x16x16_bf16 v[72:75], v[102:103], a[106:107], v[72:75]// 000000008D00: D3E10048 1522D566
	ds_read_b128 a[152:155], v12 offset:6528                   // 000000008D08: DBFE1980 9800000C
	ds_read_b128 a[156:159], v12 offset:7040                   // 000000008D10: DBFE1B80 9C00000C
	v_mfma_f32_16x16x16_bf16 v[72:75], v[104:105], a[108:109], v[72:75]// 000000008D18: D3E10048 1522D968
	v_exp_f32_e32 v48, v48                                     // 000000008D20: 7E604130
	v_mfma_f32_16x16x16_bf16 v[72:75], v[106:107], a[110:111], v[72:75]// 000000008D24: D3E10048 1522DD6A
	v_exp_f32_e32 v49, v49                                     // 000000008D2C: 7E624131
	v_mfma_f32_16x16x16_bf16 v[76:79], v[92:93], a[112:113], 0 // 000000008D30: D3E1004C 1202E15C
	v_exp_f32_e32 v50, v50                                     // 000000008D38: 7E644132
	v_mfma_f32_16x16x16_bf16 v[76:79], v[94:95], a[114:115], v[76:79]// 000000008D3C: D3E1004C 1532E55E
	ds_read_b64 v[136:137], v19 offset:24320                   // 000000008D44: D8EC5F00 88000013
	ds_read_b64 v[138:139], v19 offset:26368                   // 000000008D4C: D8EC6700 8A000013
	v_mfma_f32_16x16x16_bf16 v[76:79], v[96:97], a[116:117], v[76:79]// 000000008D54: D3E1004C 1532E960
	v_exp_f32_e32 v51, v51                                     // 000000008D5C: 7E664133
	v_mfma_f32_16x16x16_bf16 v[76:79], v[98:99], a[118:119], v[76:79]// 000000008D60: D3E1004C 1532ED62
	ds_read_b64 v[140:141], v19 offset:28416                   // 000000008D68: D8EC6F00 8C000013
	ds_read_b64 v[142:143], v19 offset:30464                   // 000000008D70: D8EC7700 8E000013
	v_mfma_f32_16x16x16_bf16 v[76:79], v[100:101], a[120:121], v[76:79]// 000000008D78: D3E1004C 1532F164
	v_exp_f32_e32 v52, v52                                     // 000000008D80: 7E684134
	v_mfma_f32_16x16x16_bf16 v[76:79], v[102:103], a[122:123], v[76:79]// 000000008D84: D3E1004C 1532F566
	v_exp_f32_e32 v53, v53                                     // 000000008D8C: 7E6A4135
	v_mfma_f32_16x16x16_bf16 v[76:79], v[104:105], a[124:125], v[76:79]// 000000008D90: D3E1004C 1532F968
	v_exp_f32_e32 v54, v54                                     // 000000008D98: 7E6C4136
	v_mfma_f32_16x16x16_bf16 v[76:79], v[106:107], a[126:127], v[76:79]// 000000008D9C: D3E1004C 1532FD6A
	v_exp_f32_e32 v55, v55                                     // 000000008DA4: 7E6E4137
	v_mfma_f32_16x16x16_bf16 v[80:83], v[92:93], a[128:129], 0 // 000000008DA8: D3E10050 1203015C
	v_exp_f32_e32 v56, v56                                     // 000000008DB0: 7E704138
	v_mfma_f32_16x16x16_bf16 v[80:83], v[94:95], a[130:131], v[80:83]// 000000008DB4: D3E10050 1543055E
	v_exp_f32_e32 v57, v57                                     // 000000008DBC: 7E724139
	v_mfma_f32_16x16x16_bf16 v[80:83], v[96:97], a[132:133], v[80:83]// 000000008DC0: D3E10050 15430960
	v_exp_f32_e32 v58, v58                                     // 000000008DC8: 7E74413A
	v_mfma_f32_16x16x16_bf16 v[80:83], v[98:99], a[134:135], v[80:83]// 000000008DCC: D3E10050 15430D62
	v_exp_f32_e32 v59, v59                                     // 000000008DD4: 7E76413B
	v_mfma_f32_16x16x16_bf16 v[80:83], v[100:101], a[136:137], v[80:83]// 000000008DD8: D3E10050 15431164
	v_perm_b32 v144, v49, v48, s64                             // 000000008DE0: D1ED0090 01026131
	v_perm_b32 v145, v51, v50, s64                             // 000000008DE8: D1ED0091 01026533
	v_perm_b32 v146, v53, v52, s64                             // 000000008DF0: D1ED0092 01026935
	v_mfma_f32_16x16x16_bf16 v[80:83], v[102:103], a[138:139], v[80:83]// 000000008DF8: D3E10050 15431566
	v_perm_b32 v147, v55, v54, s64                             // 000000008E00: D1ED0093 01026D37
	v_perm_b32 v148, v57, v56, s64                             // 000000008E08: D1ED0094 01027139
	v_perm_b32 v149, v59, v58, s64                             // 000000008E10: D1ED0095 0102753B
	v_mfma_f32_16x16x16_bf16 v[80:83], v[104:105], a[140:141], v[80:83]// 000000008E18: D3E10050 15431968
	v_add_u32_e32 v7, s66, v7                                  // 000000008E20: 680E0E42
	v_add_u32_e32 v8, s66, v8                                  // 000000008E24: 68101042
	v_mfma_f32_16x16x16_bf16 v[80:83], v[106:107], a[142:143], v[80:83]// 000000008E28: D3E10050 15431D6A
	s_waitcnt lgkmcnt(0)                                       // 000000008E30: BF8CC07F
	s_barrier                                                  // 000000008E34: BF8A0000
	v_mfma_f32_16x16x16_bf16 v[152:155], v[108:109], v[144:145], v[152:155]// 000000008E38: D3E10098 0663216C
	v_subrev_f32_dpp v72, v150, v72 quad_perm:[0,0,0,0] row_mask:0xf bank_mask:0xf// 000000008E40: 069090FA FF000096
	v_subrev_f32_dpp v73, v150, v73 quad_perm:[1,1,1,1] row_mask:0xf bank_mask:0xf// 000000008E48: 069292FA FF005596
	v_subrev_f32_dpp v74, v150, v74 quad_perm:[2,2,2,2] row_mask:0xf bank_mask:0xf// 000000008E50: 069494FA FF00AA96
	v_mfma_f32_16x16x16_bf16 v[156:159], v[110:111], v[144:145], v[156:159]// 000000008E58: D3E1009C 0673216E
	v_subrev_f32_dpp v75, v150, v75 quad_perm:[3,3,3,3] row_mask:0xf bank_mask:0xf// 000000008E60: 069696FA FF00FF96
	v_subrev_f32_dpp v76, v150, v76 quad_perm:[0,0,0,0] row_mask:0xf bank_mask:0xf// 000000008E68: 069898FA FF000096
	v_subrev_f32_dpp v77, v150, v77 quad_perm:[1,1,1,1] row_mask:0xf bank_mask:0xf// 000000008E70: 069A9AFA FF005596
	v_mfma_f32_16x16x16_bf16 v[160:163], v[112:113], v[144:145], v[160:163]// 000000008E78: D3E100A0 06832170
	v_mul_f32_e32 v72, v48, v72                                // 000000008E80: 0A909130
	v_mul_f32_e32 v73, v49, v73                                // 000000008E84: 0A929331
	v_mul_f32_e32 v74, v50, v74                                // 000000008E88: 0A949532
	v_mfma_f32_16x16x16_bf16 v[164:167], v[114:115], v[144:145], v[164:167]// 000000008E8C: D3E100A4 06932172
	v_mul_f32_e32 v75, v51, v75                                // 000000008E94: 0A969733
	v_mul_f32_e32 v76, v52, v76                                // 000000008E98: 0A989934
	v_mul_f32_e32 v77, v53, v77                                // 000000008E9C: 0A9A9B35
	v_mfma_f32_16x16x16_bf16 v[168:171], v[116:117], v[144:145], v[168:171]// 000000008EA0: D3E100A8 06A32174
	v_perm_b32 v72, v73, v72, s64                              // 000000008EA8: D1ED0048 01029149
	v_perm_b32 v73, v75, v74, s64                              // 000000008EB0: D1ED0049 0102954B
	v_perm_b32 v74, v77, v76, s64                              // 000000008EB8: D1ED004A 0102994D
	v_mfma_f32_16x16x16_bf16 v[172:175], v[118:119], v[144:145], v[172:175]// 000000008EC0: D3E100AC 06B32176
	v_mov_b32_dpp v16, v72 quad_perm:[1,0,3,2] row_mask:0xf bank_mask:0xf// 000000008EC8: 7E2002FA FF00B148
	v_perm_b32 v48, v16, v72, v15                              // 000000008ED0: D1ED0030 043E9110
	v_mov_b32_dpp v16, v73 quad_perm:[1,0,3,2] row_mask:0xf bank_mask:0xf// 000000008ED8: 7E2002FA FF00B149
	v_mfma_f32_16x16x16_bf16 v[176:179], v[120:121], v[144:145], v[176:179]// 000000008EE0: D3E100B0 06C32178
	ds_write_b32 v18, v48 offset:17408                         // 000000008EE8: D81A4400 00003012
	v_mfma_f32_16x16x16_bf16 v[180:183], v[122:123], v[144:145], v[180:183]// 000000008EF0: D3E100B4 06D3217A
	v_perm_b32 v49, v16, v73, v15                              // 000000008EF8: D1ED0031 043E9310
	v_mov_b32_dpp v16, v74 quad_perm:[1,0,3,2] row_mask:0xf bank_mask:0xf// 000000008F00: 7E2002FA FF00B14A
	v_perm_b32 v50, v16, v74, v15                              // 000000008F08: D1ED0032 043E9510
	v_mfma_f32_16x16x16_bf16 v[184:187], v[108:109], v[146:147], v[184:187]// 000000008F10: D3E100B8 06E3256C
	ds_write_b32 v18, v49 offset:17952                         // 000000008F18: D81A4620 00003112
	v_mfma_f32_16x16x16_bf16 v[188:191], v[110:111], v[146:147], v[188:191]// 000000008F20: D3E100BC 06F3256E
	v_subrev_f32_dpp v78, v150, v78 quad_perm:[2,2,2,2] row_mask:0xf bank_mask:0xf// 000000008F28: 069C9CFA FF00AA96
	v_subrev_f32_dpp v79, v150, v79 quad_perm:[3,3,3,3] row_mask:0xf bank_mask:0xf// 000000008F30: 069E9EFA FF00FF96
	v_subrev_f32_dpp v80, v150, v80 quad_perm:[0,0,0,0] row_mask:0xf bank_mask:0xf// 000000008F38: 06A0A0FA FF000096
	v_mfma_f32_16x16x16_bf16 v[192:195], v[112:113], v[146:147], v[192:195]// 000000008F40: D3E100C0 07032570
	ds_write_b32 v18, v50 offset:19712                         // 000000008F48: D81A4D00 00003212
	v_mfma_f32_16x16x16_bf16 v[196:199], v[114:115], v[146:147], v[196:199]// 000000008F50: D3E100C4 07132572
	v_subrev_f32_dpp v81, v150, v81 quad_perm:[1,1,1,1] row_mask:0xf bank_mask:0xf// 000000008F58: 06A2A2FA FF005596
	v_subrev_f32_dpp v82, v150, v82 quad_perm:[2,2,2,2] row_mask:0xf bank_mask:0xf// 000000008F60: 06A4A4FA FF00AA96
	v_subrev_f32_dpp v83, v150, v83 quad_perm:[3,3,3,3] row_mask:0xf bank_mask:0xf// 000000008F68: 06A6A6FA FF00FF96
	v_mfma_f32_16x16x16_bf16 v[200:203], v[116:117], v[146:147], v[200:203]// 000000008F70: D3E100C8 07232574
	v_mul_f32_e32 v78, v54, v78                                // 000000008F78: 0A9C9D36
	v_mul_f32_e32 v79, v55, v79                                // 000000008F7C: 0A9E9F37
	v_mul_f32_e32 v80, v56, v80                                // 000000008F80: 0AA0A138
	v_mfma_f32_16x16x16_bf16 v[204:207], v[118:119], v[146:147], v[204:207]// 000000008F84: D3E100CC 07332576
	v_mul_f32_e32 v81, v57, v81                                // 000000008F8C: 0AA2A339
	v_mul_f32_e32 v82, v58, v82                                // 000000008F90: 0AA4A53A
	v_mul_f32_e32 v83, v59, v83                                // 000000008F94: 0AA6A73B
	v_mfma_f32_16x16x16_bf16 v[208:211], v[120:121], v[146:147], v[208:211]// 000000008F98: D3E100D0 07432578
	v_perm_b32 v75, v79, v78, s64                              // 000000008FA0: D1ED004B 01029D4F
	v_perm_b32 v76, v81, v80, s64                              // 000000008FA8: D1ED004C 0102A151
	v_perm_b32 v77, v83, v82, s64                              // 000000008FB0: D1ED004D 0102A553
	v_mfma_f32_16x16x16_bf16 v[212:215], v[122:123], v[146:147], v[212:215]// 000000008FB8: D3E100D4 0753257A
	v_mov_b32_dpp v16, v75 quad_perm:[1,0,3,2] row_mask:0xf bank_mask:0xf// 000000008FC0: 7E2002FA FF00B14B
	v_perm_b32 v51, v16, v75, v15                              // 000000008FC8: D1ED0033 043E9710
	v_mov_b32_dpp v16, v76 quad_perm:[1,0,3,2] row_mask:0xf bank_mask:0xf// 000000008FD0: 7E2002FA FF00B14C
	v_mfma_f32_16x16x16_bf16 v[216:219], v[108:109], v[148:149], v[216:219]// 000000008FD8: D3E100D8 0763296C
	ds_write_b32 v18, v51 offset:20256                         // 000000008FE0: D81A4F20 00003312
	v_mfma_f32_16x16x16_bf16 v[220:223], v[110:111], v[148:149], v[220:223]// 000000008FE8: D3E100DC 0773296E
	v_perm_b32 v52, v16, v76, v15                              // 000000008FF0: D1ED0034 043E9910
	v_mov_b32_dpp v16, v77 quad_perm:[1,0,3,2] row_mask:0xf bank_mask:0xf// 000000008FF8: 7E2002FA FF00B14D
	v_perm_b32 v53, v16, v77, v15                              // 000000009000: D1ED0035 043E9B10
	v_mfma_f32_16x16x16_bf16 v[224:227], v[112:113], v[148:149], v[224:227]// 000000009008: D3E100E0 07832970
	ds_write_b32 v18, v52 offset:22016                         // 000000009010: D81A5600 00003412
	ds_write_b32 v18, v53 offset:22560                         // 000000009018: D81A5820 00003512
	v_mfma_f32_16x16x16_bf16 v[228:231], v[114:115], v[148:149], v[228:231]// 000000009020: D3E100E4 07932972
	v_mfma_f32_16x16x16_bf16 v[232:235], v[116:117], v[148:149], v[232:235]// 000000009028: D3E100E8 07A32974
	ds_write_b32 v13, v84 offset:4352                          // 000000009030: D81A1100 0000540D
	ds_write_b32 v13, v85 offset:5408                          // 000000009038: D81A1520 0000550D
	v_mfma_f32_16x16x16_bf16 v[236:239], v[118:119], v[148:149], v[236:239]// 000000009040: D3E100EC 07B32976
	v_mfma_f32_16x16x16_bf16 v[240:243], v[120:121], v[148:149], v[240:243]// 000000009048: D3E100F0 07C32978
	ds_write_b32 v13, v86 offset:4480                          // 000000009050: D81A1180 0000560D
	ds_write_b32 v13, v87 offset:5536                          // 000000009058: D81A15A0 0000570D
	v_mfma_f32_16x16x16_bf16 v[244:247], v[122:123], v[148:149], v[244:247]// 000000009060: D3E100F4 07D3297A
	s_nop 0                                                    // 000000009068: BF800000
	s_nop 0                                                    // 00000000906C: BF800000
	s_nop 0                                                    // 000000009070: BF800000
	s_barrier                                                  // 000000009074: BF8A0000
	v_mfma_f32_16x16x16_bf16 a[160:163], a[144:145], v[72:73], a[160:163]// 000000009078: D3E180A0 0E829190
	ds_read_b32 v124, v21 offset:51200                         // 000000009080: D86CC800 7C000015
	ds_read_b32 v150, v21 offset:51456                         // 000000009088: D86CC900 96000015
	v_mfma_f32_16x16x16_bf16 a[164:167], a[146:147], v[72:73], a[164:167]// 000000009090: D3E180A4 0E929192
	buffer_atomic_add_f32 v136, v7, s[32:35], 0 offen          // 000000009098: E1341000 80088807
	v_mfma_f32_16x16x16_bf16 a[168:171], a[148:149], v[72:73], a[168:171]// 0000000090A0: D3E180A8 0EA29194
	s_waitcnt lgkmcnt(6)                                       // 0000000090A8: BF8CC67F
	s_barrier                                                  // 0000000090AC: BF8A0000
	v_mfma_f32_16x16x16_bf16 a[172:175], a[150:151], v[72:73], a[172:175]// 0000000090B0: D3E180AC 0EB29196
	v_mfma_f32_16x16x16_bf16 a[176:179], a[152:153], v[72:73], a[176:179]// 0000000090B8: D3E180B0 0EC29198
	ds_read_b128 v[48:51], v17 offset:17408                    // 0000000090C0: D9FE4400 30000011
	v_mfma_f32_16x16x16_bf16 a[180:183], a[154:155], v[72:73], a[180:183]// 0000000090C8: D3E180B4 0ED2919A
	v_mfma_f32_16x16x16_bf16 a[184:187], a[156:157], v[72:73], a[184:187]// 0000000090D0: D3E180B8 0EE2919C
	ds_read_b128 v[52:55], v17 offset:18560                    // 0000000090D8: D9FE4880 34000011
	v_mfma_f32_16x16x16_bf16 a[188:191], a[158:159], v[72:73], a[188:191]// 0000000090E0: D3E180BC 0EF2919E
	buffer_atomic_add_f32 v137, v8, s[32:35], 0 offen          // 0000000090E8: E1341000 80088908
	v_mfma_f32_16x16x16_bf16 a[192:195], a[144:145], v[74:75], a[192:195]// 0000000090F0: D3E180C0 0F029590
	ds_read_b128 v[56:59], v17 offset:19712                    // 0000000090F8: D9FE4D00 38000011
	v_mfma_f32_16x16x16_bf16 a[196:199], a[146:147], v[74:75], a[196:199]// 000000009100: D3E180C4 0F129592
	v_mfma_f32_16x16x16_bf16 a[200:203], a[148:149], v[74:75], a[200:203]// 000000009108: D3E180C8 0F229594
	ds_read_b128 v[60:63], v17 offset:20864                    // 000000009110: D9FE5180 3C000011
	v_mfma_f32_16x16x16_bf16 a[204:207], a[150:151], v[74:75], a[204:207]// 000000009118: D3E180CC 0F329596
	v_mfma_f32_16x16x16_bf16 a[208:211], a[152:153], v[74:75], a[208:211]// 000000009120: D3E180D0 0F429598
	ds_read_b128 v[64:67], v17 offset:22016                    // 000000009128: D9FE5600 40000011
	v_mfma_f32_16x16x16_bf16 a[212:215], a[154:155], v[74:75], a[212:215]// 000000009130: D3E180D4 0F52959A
	buffer_atomic_add_f32 v138, v7, s[32:35], 0 offen offset:128// 000000009138: E1341080 80088A07
	v_mfma_f32_16x16x16_bf16 a[216:219], a[156:157], v[74:75], a[216:219]// 000000009140: D3E180D8 0F62959C
	ds_read_b128 v[68:71], v17 offset:23168                    // 000000009148: D9FE5A80 44000011
	v_mfma_f32_16x16x16_bf16 a[220:223], a[158:159], v[74:75], a[220:223]// 000000009150: D3E180DC 0F72959E
	v_mfma_f32_16x16x16_bf16 a[224:227], a[144:145], v[76:77], a[224:227]// 000000009158: D3E180E0 0F829990
	ds_write_b32 v13, v88 offset:13056                         // 000000009160: D81A3300 0000580D
	v_mfma_f32_16x16x16_bf16 a[228:231], a[146:147], v[76:77], a[228:231]// 000000009168: D3E180E4 0F929992
	v_mfma_f32_16x16x16_bf16 a[232:235], a[148:149], v[76:77], a[232:235]// 000000009170: D3E180E8 0FA29994
	ds_write_b32 v13, v89 offset:14112                         // 000000009178: D81A3720 0000590D
	v_mfma_f32_16x16x16_bf16 a[236:239], a[150:151], v[76:77], a[236:239]// 000000009180: D3E180EC 0FB29996
	buffer_atomic_add_f32 v139, v8, s[32:35], 0 offen offset:128// 000000009188: E1341080 80088B08
	v_mfma_f32_16x16x16_bf16 a[240:243], a[152:153], v[76:77], a[240:243]// 000000009190: D3E180F0 0FC29998
	ds_write_b32 v13, v90 offset:13184                         // 000000009198: D81A3380 00005A0D
	v_mfma_f32_16x16x16_bf16 a[244:247], a[154:155], v[76:77], a[244:247]// 0000000091A0: D3E180F4 0FD2999A
	v_mfma_f32_16x16x16_bf16 a[248:251], a[156:157], v[76:77], a[248:251]// 0000000091A8: D3E180F8 0FE2999C
	ds_write_b32 v13, v91 offset:14240                         // 0000000091B0: D81A37A0 00005B0D
	v_mfma_f32_16x16x16_bf16 a[252:255], a[158:159], v[76:77], a[252:255]// 0000000091B8: D3E180FC 0FF2999E
	s_waitcnt vmcnt(8) lgkmcnt(4)                              // 0000000091C0: BF8C0478
	s_barrier                                                  // 0000000091C4: BF8A0000
	v_mfma_f32_16x16x16_bf16 v[128:131], v[48:49], a[48:49], 0 // 0000000091C8: D3E10080 12026130
	ds_read_b128 a[144:147], v10                               // 0000000091D0: DBFE0000 9000000A
	v_mov_b32_e32 v36, 0                                       // 0000000091D8: 7E480280
	s_mov_b64 exec, s[88:89]                                   // 0000000091DC: BEFE0158
	buffer_load_dword v36, v1, s[8:11], 0 idxen                // 0000000091E0: E0502000 80022401
	s_mov_b64 exec, s[86:87]                                   // 0000000091E8: BEFE0156
	v_mfma_f32_16x16x16_bf16 v[128:131], v[50:51], a[52:53], v[128:131]// 0000000091EC: D3E10080 16026932
	v_cmp_eq_u32_e32 vcc, v124, v151                           // 0000000091F4: 7D952F7C
	v_mov_b32_e32 v28, 0                                       // 0000000091F8: 7E380280
	v_cndmask_b32_e32 v124, v124, v28, vcc                     // 0000000091FC: 00F8397C
	v_mul_f32_e32 v124, s48, v124                              // 000000009200: 0AF8F830
	s_nop 0                                                    // 000000009204: BF800000
	v_mfma_f32_16x16x16_bf16 v[128:131], v[52:53], a[56:57], v[128:131]// 000000009208: D3E10080 16027134
	ds_read_b128 a[148:151], v10 offset:512                    // 000000009210: DBFE0200 9400000A
	v_mov_b32_e32 v37, 0                                       // 000000009218: 7E4A0280
	s_mov_b64 exec, s[88:89]                                   // 00000000921C: BEFE0158
	buffer_load_dword v37, v2, s[8:11], 0 idxen                // 000000009220: E0502000 80022502
	s_mov_b64 exec, s[86:87]                                   // 000000009228: BEFE0156
	v_mfma_f32_16x16x16_bf16 v[128:131], v[54:55], a[60:61], v[128:131]// 00000000922C: D3E10080 16027936
	v_mfma_f32_16x16x16_bf16 v[128:131], v[56:57], a[64:65], v[128:131]// 000000009234: D3E10080 16028138
	ds_read_b128 a[152:155], v10 offset:2176                   // 00000000923C: DBFE0880 9800000A
	v_mov_b32_e32 v38, 0                                       // 000000009244: 7E4C0280
	s_mov_b64 exec, s[88:89]                                   // 000000009248: BEFE0158
	buffer_load_dword v38, v3, s[8:11], 0 idxen                // 00000000924C: E0502000 80022603
	s_mov_b64 exec, s[86:87]                                   // 000000009254: BEFE0156
	v_mfma_f32_16x16x16_bf16 v[128:131], v[58:59], a[68:69], v[128:131]// 000000009258: D3E10080 1602893A
	v_perm_b32 v84, v33, v32, s63                              // 000000009260: D1ED0054 00FE4121
	v_perm_b32 v85, v33, v32, s64                              // 000000009268: D1ED0055 01024121
	v_mfma_f32_16x16x16_bf16 v[128:131], v[60:61], a[72:73], v[128:131]// 000000009270: D3E10080 1602913C
	ds_read_b128 a[156:159], v10 offset:2688                   // 000000009278: DBFE0A80 9C00000A
	v_mov_b32_e32 v39, 0                                       // 000000009280: 7E4E0280
	s_mov_b64 exec, s[88:89]                                   // 000000009284: BEFE0158
	buffer_load_dword v39, v4, s[8:11], 0 idxen                // 000000009288: E0502000 80022704
	s_mov_b64 exec, s[86:87]                                   // 000000009290: BEFE0156
	v_mfma_f32_16x16x16_bf16 v[128:131], v[62:63], a[76:77], v[128:131]// 000000009294: D3E10080 1602993E
	v_perm_b32 v86, v35, v34, s63                              // 00000000929C: D1ED0056 00FE4523
	v_perm_b32 v87, v35, v34, s64                              // 0000000092A4: D1ED0057 01024523
	v_mfma_f32_16x16x16_bf16 v[128:131], v[64:65], a[80:81], v[128:131]// 0000000092AC: D3E10080 1602A140
	ds_read_b128 v[92:95], v10 offset:8704                     // 0000000092B4: D9FE2200 5C00000A
	v_mov_b32_e32 v44, 0                                       // 0000000092BC: 7E580280
	s_mov_b64 exec, s[88:89]                                   // 0000000092C0: BEFE0158
	buffer_load_dword v44, v252, s[20:23], 0 idxen             // 0000000092C4: E0502000 80052CFC
	s_mov_b64 exec, s[86:87]                                   // 0000000092CC: BEFE0156
	v_mfma_f32_16x16x16_bf16 v[128:131], v[66:67], a[84:85], v[128:131]// 0000000092D0: D3E10080 1602A942
	v_perm_b32 v88, v41, v40, s63                              // 0000000092D8: D1ED0058 00FE5129
	v_perm_b32 v89, v41, v40, s64                              // 0000000092E0: D1ED0059 01025129
	v_mfma_f32_16x16x16_bf16 v[128:131], v[68:69], a[88:89], v[128:131]// 0000000092E8: D3E10080 1602B144
	ds_read_b128 v[96:99], v10 offset:9216                     // 0000000092F0: D9FE2400 6000000A
	v_mov_b32_e32 v45, 0                                       // 0000000092F8: 7E5A0280
	s_mov_b64 exec, s[88:89]                                   // 0000000092FC: BEFE0158
	buffer_load_dword v45, v253, s[20:23], 0 idxen             // 000000009300: E0502000 80052DFD
	s_mov_b64 exec, s[86:87]                                   // 000000009308: BEFE0156
	v_mfma_f32_16x16x16_bf16 v[128:131], v[70:71], a[92:93], v[128:131]// 00000000930C: D3E10080 1602B946
	v_perm_b32 v90, v43, v42, s63                              // 000000009314: D1ED005A 00FE552B
	v_perm_b32 v91, v43, v42, s64                              // 00000000931C: D1ED005B 0102552B
	v_mfma_f32_16x16x16_bf16 v[132:135], v[48:49], a[50:51], 0 // 000000009324: D3E10084 12026530
	ds_read_b128 v[100:103], v10 offset:10880                  // 00000000932C: D9FE2A80 6400000A
	v_mov_b32_e32 v46, 0                                       // 000000009334: 7E5C0280
	s_mov_b64 exec, s[88:89]                                   // 000000009338: BEFE0158
	buffer_load_dword v46, v254, s[20:23], 0 idxen             // 00000000933C: E0502000 80052EFE
	s_mov_b64 exec, s[86:87]                                   // 000000009344: BEFE0156
	v_mfma_f32_16x16x16_bf16 v[132:135], v[50:51], a[54:55], v[132:135]// 000000009348: D3E10084 16126D32
	v_mov_b32_dpp v127, v124 quad_perm:[3,3,3,3] row_mask:0xf bank_mask:0xf// 000000009350: 7EFE02FA FF00FF7C
	v_mov_b32_dpp v126, v124 quad_perm:[2,2,2,2] row_mask:0xf bank_mask:0xf// 000000009358: 7EFC02FA FF00AA7C
	v_mfma_f32_16x16x16_bf16 v[132:135], v[52:53], a[58:59], v[132:135]// 000000009360: D3E10084 16127534
	ds_read_b128 v[104:107], v10 offset:11392                  // 000000009368: D9FE2C80 6800000A
	v_mov_b32_e32 v47, 0                                       // 000000009370: 7E5E0280
	s_mov_b64 exec, s[88:89]                                   // 000000009374: BEFE0158
	buffer_load_dword v47, v255, s[20:23], 0 idxen             // 000000009378: E0502000 80052FFF
	s_mov_b64 exec, s[86:87]                                   // 000000009380: BEFE0156
	v_mfma_f32_16x16x16_bf16 v[132:135], v[54:55], a[62:63], v[132:135]// 000000009384: D3E10084 16127D36
	v_mov_b32_dpp v125, v124 quad_perm:[1,1,1,1] row_mask:0xf bank_mask:0xf// 00000000938C: 7EFA02FA FF00557C
	v_mov_b32_dpp v124, v124 quad_perm:[0,0,0,0] row_mask:0xf bank_mask:0xf// 000000009394: 7EF802FA FF00007C
	s_add_u32 s60, 64, s59                                     // 00000000939C: 803C3BC0
	v_mfma_f32_16x16x16_bf16 v[132:135], v[56:57], a[66:67], v[132:135]// 0000000093A0: D3E10084 16128538
	buffer_load_dword v9, s[24:27], 0 idxen lds                // 0000000093A8: E0512000 80060009
	v_mfma_f32_16x16x16_bf16 v[132:135], v[58:59], a[70:71], v[132:135]// 0000000093B0: D3E10084 16128D3A
	s_cmp_lt_u32 s60, s58                                      // 0000000093B8: BF0A3A3C
	s_cselect_b32 s68, s68, 0                                  // 0000000093BC: 85448044
	s_cselect_b32 s97, s97, 0                                  // 0000000093C0: 85618061
	s_cselect_b32 s69, s69, 0                                  // 0000000093C4: 85458045
	v_mfma_f32_16x16x16_bf16 v[132:135], v[60:61], a[74:75], v[132:135]// 0000000093C8: D3E10084 1612953C
	v_add_u32_e32 v1, s68, v1                                  // 0000000093D0: 68020244
	v_add_u32_e32 v2, s68, v2                                  // 0000000093D4: 68040444
	v_add_u32_e32 v3, s68, v3                                  // 0000000093D8: 68060644
	v_add_u32_e32 v4, s68, v4                                  // 0000000093DC: 68080844
	v_mfma_f32_16x16x16_bf16 v[132:135], v[62:63], a[78:79], v[132:135]// 0000000093E0: D3E10084 16129D3E
	v_add_u32_e32 v252, s97, v252                              // 0000000093E8: 69F9F861
	v_add_u32_e32 v253, s97, v253                              // 0000000093EC: 69FBFA61
	v_add_u32_e32 v254, s97, v254                              // 0000000093F0: 69FDFC61
	v_add_u32_e32 v255, s97, v255                              // 0000000093F4: 69FFFE61
	v_mfma_f32_16x16x16_bf16 v[132:135], v[64:65], a[82:83], v[132:135]// 0000000093F8: D3E10084 1612A540
	s_mov_b32 m0, s76                                          // 000000009400: BEFC004C
	v_add_u32_e32 v9, s69, v9                                  // 000000009404: 68121245
	v_mfma_f32_16x16x16_bf16 v[132:135], v[66:67], a[86:87], v[132:135]// 000000009408: D3E10084 1612AD42
	s_cmp_ge_u32 s59, s101                                     // 000000009410: BF09653B
	s_cselect_b32 s66, s67, s66                                // 000000009414: 85424243
	v_mfma_f32_16x16x16_bf16 v[132:135], v[68:69], a[90:91], v[132:135]// 000000009418: D3E10084 1612B544
	s_addk_i32 s59, 0x10                                       // 000000009420: B73B0010
	s_nop 0                                                    // 000000009424: BF800000
	s_cmp_lt_i32 s59, s58                                      // 000000009428: BF043A3B
	v_mfma_f32_16x16x16_bf16 v[132:135], v[70:71], a[94:95], v[132:135]// 00000000942C: D3E10084 1612BD46
	s_cbranch_scc0 label_11AE                                  // 000000009434: BF84FC14
	s_waitcnt lgkmcnt(0)                                       // 000000009438: BF8CC07F
	s_barrier                                                  // 00000000943C: BF8A0000
	v_mfma_f32_16x16x16_bf16 v[48:51], a[144:145], a[0:1], 0   // 000000009440: D3E10030 1A020190
	v_mul_f32_e32 v128, s47, v128                              // 000000009448: 0B01002F
	v_mul_f32_e32 v129, s47, v129                              // 00000000944C: 0B03022F
	v_mfma_f32_16x16x16_bf16 v[48:51], a[146:147], a[2:3], v[48:51]// 000000009450: D3E10030 1CC20592
	ds_write_b32 v11, v40 offset:8704                          // 000000009458: D81A2200 0000280B
	ds_write_b32 v11, v41 offset:9760                          // 000000009460: D81A2620 0000290B
	v_mfma_f32_16x16x16_bf16 v[48:51], a[148:149], a[4:5], v[48:51]// 000000009468: D3E10030 1CC20994
	v_mul_f32_e32 v130, s47, v130                              // 000000009470: 0B05042F
	v_mul_f32_e32 v131, s47, v131                              // 000000009474: 0B07062F
	v_mfma_f32_16x16x16_bf16 v[48:51], a[150:151], a[6:7], v[48:51]// 000000009478: D3E10030 1CC20D96
	ds_write_b32 v11, v42 offset:8832                          // 000000009480: D81A2280 00002A0B
	ds_write_b32 v11, v43 offset:9888                          // 000000009488: D81A26A0 00002B0B
	v_mfma_f32_16x16x16_bf16 v[48:51], a[152:153], a[8:9], v[48:51]// 000000009490: D3E10030 1CC21198
	v_mul_f32_e32 v132, s47, v132                              // 000000009498: 0B09082F
	v_mul_f32_e32 v133, s47, v133                              // 00000000949C: 0B0B0A2F
	v_mfma_f32_16x16x16_bf16 v[48:51], a[154:155], a[10:11], v[48:51]// 0000000094A0: D3E10030 1CC2159A
	ds_write_b64 v20, v[128:129] offset:24320                  // 0000000094A8: D89A5F00 00008014
	v_mfma_f32_16x16x16_bf16 v[48:51], a[156:157], a[12:13], v[48:51]// 0000000094B0: D3E10030 1CC2199C
	v_mul_f32_e32 v134, s47, v134                              // 0000000094B8: 0B0D0C2F
	v_mul_f32_e32 v135, s47, v135                              // 0000000094BC: 0B0F0E2F
	v_mfma_f32_16x16x16_bf16 v[48:51], a[158:159], a[14:15], v[48:51]// 0000000094C0: D3E10030 1CC21D9E
	ds_write_b64 v20, v[130:131] offset:24832                  // 0000000094C8: D89A6100 00008214
	v_mfma_f32_16x16x16_bf16 v[52:55], a[144:145], a[16:17], 0 // 0000000094D0: D3E10034 1A022190
	buffer_atomic_add_f32 v140, v7, s[32:35], 0 offen offset:256// 0000000094D8: E1341100 80088C07
	v_mfma_f32_16x16x16_bf16 v[52:55], a[146:147], a[18:19], v[52:55]// 0000000094E0: D3E10034 1CD22592
	ds_write_b64 v20, v[132:133] offset:25344                  // 0000000094E8: D89A6300 00008414
	v_mfma_f32_16x16x16_bf16 v[52:55], a[148:149], a[20:21], v[52:55]// 0000000094F0: D3E10034 1CD22994
	v_mfma_f32_16x16x16_bf16 v[52:55], a[150:151], a[22:23], v[52:55]// 0000000094F8: D3E10034 1CD22D96
	ds_write_b64 v20, v[134:135] offset:25856                  // 000000009500: D89A6500 00008614
	v_mfma_f32_16x16x16_bf16 v[52:55], a[152:153], a[24:25], v[52:55]// 000000009508: D3E10034 1CD23198
	buffer_atomic_add_f32 v141, v8, s[32:35], 0 offen offset:256// 000000009510: E1341100 80088D08
	v_mfma_f32_16x16x16_bf16 v[52:55], a[154:155], a[26:27], v[52:55]// 000000009518: D3E10034 1CD2359A
	ds_read_b128 v[108:111], v12 offset:13056                  // 000000009520: D9FE3300 6C00000C
	ds_write_b32 v11, v32                                      // 000000009528: D81A0000 0000200B
	v_mfma_f32_16x16x16_bf16 v[52:55], a[156:157], a[28:29], v[52:55]// 000000009530: D3E10034 1CD2399C
	v_mfma_f32_16x16x16_bf16 v[52:55], a[158:159], a[30:31], v[52:55]// 000000009538: D3E10034 1CD23D9E
	v_mfma_f32_16x16x16_bf16 v[56:59], a[144:145], a[32:33], 0 // 000000009540: D3E10038 1A024190
	ds_read_b128 v[112:115], v12 offset:13568                  // 000000009548: D9FE3500 7000000C
	ds_write_b32 v11, v33 offset:1056                          // 000000009550: D81A0420 0000210B
	v_mfma_f32_16x16x16_bf16 v[56:59], a[146:147], a[34:35], v[56:59]// 000000009558: D3E10038 1CE24592
	buffer_atomic_add_f32 v142, v7, s[32:35], 0 offen offset:384// 000000009560: E1341180 80088E07
	v_mfma_f32_16x16x16_bf16 v[56:59], a[148:149], a[36:37], v[56:59]// 000000009568: D3E10038 1CE24994
	v_mfma_f32_16x16x16_bf16 v[56:59], a[150:151], a[38:39], v[56:59]// 000000009570: D3E10038 1CE24D96
	ds_read_b128 v[116:119], v12 offset:15232                  // 000000009578: D9FE3B80 7400000C
	ds_write_b32 v11, v34 offset:128                           // 000000009580: D81A0080 0000220B
	v_mfma_f32_16x16x16_bf16 v[56:59], a[152:153], a[40:41], v[56:59]// 000000009588: D3E10038 1CE25198
	v_mfma_f32_16x16x16_bf16 v[56:59], a[154:155], a[42:43], v[56:59]// 000000009590: D3E10038 1CE2559A
	buffer_atomic_add_f32 v143, v8, s[32:35], 0 offen offset:384// 000000009598: E1341180 80088F08
	v_mfma_f32_16x16x16_bf16 v[56:59], a[156:157], a[44:45], v[56:59]// 0000000095A0: D3E10038 1CE2599C
	ds_read_b128 v[120:123], v12 offset:15744                  // 0000000095A8: D9FE3D80 7800000C
	ds_write_b32 v11, v35 offset:1184                          // 0000000095B0: D81A04A0 0000230B
	v_mfma_f32_16x16x16_bf16 v[56:59], a[158:159], a[46:47], v[56:59]// 0000000095B8: D3E10038 1CE25D9E
	s_add_i32 s82, s59, s99                                    // 0000000095C0: 8152633B
	s_sub_i32 s82, s82, 1                                      // 0000000095C4: 81D28152
	s_add_i32 s81, s59, 16                                     // 0000000095C8: 8151903B
	s_sub_i32 s81, s81, s100                                   // 0000000095CC: 81D16451
	s_add_i32 s81, s81, 1                                      // 0000000095D0: 81518151
	s_branch label_1608                                        // 0000000095D4: BF820000

00000000000095d8 <label_1608>:
	s_add_i32 s62, 0, s46                                      // 0000000095D8: 813E2E80
	s_mul_i32 s62, s62, 16                                     // 0000000095DC: 923E903E
	s_add_i32 s62, s80, s62                                    // 0000000095E0: 813E3E50
	s_add_i32 s61, s62, 16                                     // 0000000095E4: 813D903E
	s_add_i32 s61, s61, 16                                     // 0000000095E8: 813D903D
	s_cmp_lt_i32 s61, s81                                      // 0000000095EC: BF04513D
	s_cselect_b32 s60, 1, 0                                    // 0000000095F0: 853C8081
	s_sub_i32 s62, s62, 16                                     // 0000000095F4: 81BE903E
	s_cmp_gt_i32 s62, s82                                      // 0000000095F8: BF02523E
	s_cselect_b32 s61, 1, 0                                    // 0000000095FC: 853D8081
	s_or_b32 s60, s60, s61                                     // 000000009600: 873C3D3C
	s_cmp_eq_i32 s60, 1                                        // 000000009604: BF00813C
	s_cbranch_scc1 label_169B                                  // 000000009608: BF850085
	s_add_i32 s61, s62, 32                                     // 00000000960C: 813DA03E
	s_add_i32 s62, s62, 16                                     // 000000009610: 813E903E
	s_cmp_lt_i32 s62, s81                                      // 000000009614: BF04513E
	s_cselect_b32 s60, 1, 0                                    // 000000009618: 853C8081
	s_cmp_gt_i32 s61, s82                                      // 00000000961C: BF02523D
	s_cselect_b32 s61, 1, 0                                    // 000000009620: 853D8081
	s_or_b32 s60, s60, s61                                     // 000000009624: 873C3D3C
	s_cmp_eq_i32 s60, 1                                        // 000000009628: BF00813C
	s_cbranch_scc1 label_164E                                  // 00000000962C: BF85002F
	s_branch label_161F                                        // 000000009630: BF820000

0000000000009634 <label_161F>:
	s_add_i32 s62, 4, s46                                      // 000000009634: 813E2E84
	s_mul_i32 s62, s62, 16                                     // 000000009638: 923E903E
	s_add_i32 s62, s80, s62                                    // 00000000963C: 813E3E50
	s_add_i32 s61, s62, 16                                     // 000000009640: 813D903E
	s_add_i32 s61, s61, 16                                     // 000000009644: 813D903D
	s_cmp_lt_i32 s61, s81                                      // 000000009648: BF04513D
	s_cselect_b32 s60, 1, 0                                    // 00000000964C: 853C8081
	s_sub_i32 s62, s62, 16                                     // 000000009650: 81BE903E
	s_cmp_gt_i32 s62, s82                                      // 000000009654: BF02523E
	s_cselect_b32 s61, 1, 0                                    // 000000009658: 853D8081
	s_or_b32 s60, s60, s61                                     // 00000000965C: 873C3D3C
	s_cmp_eq_i32 s60, 1                                        // 000000009660: BF00813C
	s_cbranch_scc1 label_16ED                                  // 000000009664: BF8500C0
	s_add_i32 s61, s62, 32                                     // 000000009668: 813DA03E
	s_add_i32 s62, s62, 16                                     // 00000000966C: 813E903E
	s_cmp_lt_i32 s62, s81                                      // 000000009670: BF04513E
	s_cselect_b32 s60, 1, 0                                    // 000000009674: 853C8081
	s_cmp_gt_i32 s61, s82                                      // 000000009678: BF02523D
	s_cselect_b32 s61, 1, 0                                    // 00000000967C: 853D8081
	s_or_b32 s60, s60, s61                                     // 000000009680: 873C3D3C
	s_cmp_eq_i32 s60, 1                                        // 000000009684: BF00813C
	s_cbranch_scc1 label_16A0                                  // 000000009688: BF85006A
	s_branch label_1636                                        // 00000000968C: BF820000

0000000000009690 <label_1636>:
	s_add_i32 s62, 8, s46                                      // 000000009690: 813E2E88
	s_mul_i32 s62, s62, 16                                     // 000000009694: 923E903E
	s_add_i32 s62, s80, s62                                    // 000000009698: 813E3E50
	s_add_i32 s61, s62, 16                                     // 00000000969C: 813D903E
	s_add_i32 s61, s61, 16                                     // 0000000096A0: 813D903D
	s_cmp_lt_i32 s61, s81                                      // 0000000096A4: BF04513D
	s_cselect_b32 s60, 1, 0                                    // 0000000096A8: 853C8081
	s_sub_i32 s62, s62, 16                                     // 0000000096AC: 81BE903E
	s_cmp_gt_i32 s62, s82                                      // 0000000096B0: BF02523E
	s_cselect_b32 s61, 1, 0                                    // 0000000096B4: 853D8081
	s_or_b32 s60, s60, s61                                     // 0000000096B8: 873C3D3C
	s_cmp_eq_i32 s60, 1                                        // 0000000096BC: BF00813C
	s_cbranch_scc1 label_173F                                  // 0000000096C0: BF8500FB
	s_add_i32 s61, s62, 32                                     // 0000000096C4: 813DA03E
	s_add_i32 s62, s62, 16                                     // 0000000096C8: 813E903E
	s_cmp_lt_i32 s62, s81                                      // 0000000096CC: BF04513E
	s_cselect_b32 s60, 1, 0                                    // 0000000096D0: 853C8081
	s_cmp_gt_i32 s61, s82                                      // 0000000096D4: BF02523D
	s_cselect_b32 s61, 1, 0                                    // 0000000096D8: 853D8081
	s_or_b32 s60, s60, s61                                     // 0000000096DC: 873C3D3C
	s_cmp_eq_i32 s60, 1                                        // 0000000096E0: BF00813C
	s_cbranch_scc1 label_16F2                                  // 0000000096E4: BF8500A5
	s_branch label_1744                                        // 0000000096E8: BF8200F6

00000000000096ec <label_164E>:
	v_and_b32_e32 v28, 15, v0                                  // 0000000096EC: 2638008F
	v_add_u32_e32 v28, s62, v28                                // 0000000096F0: 6838383E
	v_lshrrev_b32_e32 v29, 4, v0                               // 0000000096F4: 203A0084
	v_lshlrev_b32_e32 v29, 2, v29                              // 0000000096F8: 243A3A82
	v_add_i32 v29, 0, v29                                      // 0000000096FC: D29C001D 00023A80
	v_add_i32 v29, s59, v29                                    // 000000009704: D29C001D 00023A3B
	v_sub_i32 v29, v29, v28                                    // 00000000970C: D29D001D 0002391D
	v_cmp_ge_i32_e64 vcc, v29, s100                            // 000000009714: D0C6006A 0000C91D
	v_sub_i32 v29, 0, v29                                      // 00000000971C: D29D001D 00023A80
	v_cndmask_b32_e32 v48, v48, v151, vcc                      // 000000009724: 00612F30
	v_cmp_ge_i32_e64 vcc, v29, s99                             // 000000009728: D0C6006A 0000C71D
	s_nop 1                                                    // 000000009730: BF800001
	v_cndmask_b32_e32 v48, v48, v151, vcc                      // 000000009734: 00612F30
	v_and_b32_e32 v28, 15, v0                                  // 000000009738: 2638008F
	v_add_u32_e32 v28, s62, v28                                // 00000000973C: 6838383E
	v_lshrrev_b32_e32 v29, 4, v0                               // 000000009740: 203A0084
	v_lshlrev_b32_e32 v29, 2, v29                              // 000000009744: 243A3A82
	v_add_i32 v29, 1, v29                                      // 000000009748: D29C001D 00023A81
	v_add_i32 v29, s59, v29                                    // 000000009750: D29C001D 00023A3B
	v_sub_i32 v29, v29, v28                                    // 000000009758: D29D001D 0002391D
	v_cmp_ge_i32_e64 vcc, v29, s100                            // 000000009760: D0C6006A 0000C91D
	v_sub_i32 v29, 0, v29                                      // 000000009768: D29D001D 00023A80
	v_cndmask_b32_e32 v49, v49, v151, vcc                      // 000000009770: 00632F31
	v_cmp_ge_i32_e64 vcc, v29, s99                             // 000000009774: D0C6006A 0000C71D
	s_nop 1                                                    // 00000000977C: BF800001
	v_cndmask_b32_e32 v49, v49, v151, vcc                      // 000000009780: 00632F31
	v_and_b32_e32 v28, 15, v0                                  // 000000009784: 2638008F
	v_add_u32_e32 v28, s62, v28                                // 000000009788: 6838383E
	v_lshrrev_b32_e32 v29, 4, v0                               // 00000000978C: 203A0084
	v_lshlrev_b32_e32 v29, 2, v29                              // 000000009790: 243A3A82
	v_add_i32 v29, 2, v29                                      // 000000009794: D29C001D 00023A82
	v_add_i32 v29, s59, v29                                    // 00000000979C: D29C001D 00023A3B
	v_sub_i32 v29, v29, v28                                    // 0000000097A4: D29D001D 0002391D
	v_cmp_ge_i32_e64 vcc, v29, s100                            // 0000000097AC: D0C6006A 0000C91D
	v_sub_i32 v29, 0, v29                                      // 0000000097B4: D29D001D 00023A80
	v_cndmask_b32_e32 v50, v50, v151, vcc                      // 0000000097BC: 00652F32
	v_cmp_ge_i32_e64 vcc, v29, s99                             // 0000000097C0: D0C6006A 0000C71D
	s_nop 1                                                    // 0000000097C8: BF800001
	v_cndmask_b32_e32 v50, v50, v151, vcc                      // 0000000097CC: 00652F32
	v_and_b32_e32 v28, 15, v0                                  // 0000000097D0: 2638008F
	v_add_u32_e32 v28, s62, v28                                // 0000000097D4: 6838383E
	v_lshrrev_b32_e32 v29, 4, v0                               // 0000000097D8: 203A0084
	v_lshlrev_b32_e32 v29, 2, v29                              // 0000000097DC: 243A3A82
	v_add_i32 v29, 3, v29                                      // 0000000097E0: D29C001D 00023A83
	v_add_i32 v29, s59, v29                                    // 0000000097E8: D29C001D 00023A3B
	v_sub_i32 v29, v29, v28                                    // 0000000097F0: D29D001D 0002391D
	v_cmp_ge_i32_e64 vcc, v29, s100                            // 0000000097F8: D0C6006A 0000C91D
	v_sub_i32 v29, 0, v29                                      // 000000009800: D29D001D 00023A80
	v_cndmask_b32_e32 v51, v51, v151, vcc                      // 000000009808: 00672F33
	v_cmp_ge_i32_e64 vcc, v29, s99                             // 00000000980C: D0C6006A 0000C71D
	s_nop 1                                                    // 000000009814: BF800001
	v_cndmask_b32_e32 v51, v51, v151, vcc                      // 000000009818: 00672F33
	s_branch label_161F                                        // 00000000981C: BF82FF85

0000000000009820 <label_169B>:
	v_mov_b32_e32 v48, v151                                    // 000000009820: 7E600397
	v_mov_b32_e32 v49, v151                                    // 000000009824: 7E620397
	v_mov_b32_e32 v50, v151                                    // 000000009828: 7E640397
	v_mov_b32_e32 v51, v151                                    // 00000000982C: 7E660397
	s_branch label_161F                                        // 000000009830: BF82FF80

0000000000009834 <label_16A0>:
	v_and_b32_e32 v28, 15, v0                                  // 000000009834: 2638008F
	v_add_u32_e32 v28, s62, v28                                // 000000009838: 6838383E
	v_lshrrev_b32_e32 v29, 4, v0                               // 00000000983C: 203A0084
	v_lshlrev_b32_e32 v29, 2, v29                              // 000000009840: 243A3A82
	v_add_i32 v29, 0, v29                                      // 000000009844: D29C001D 00023A80
	v_add_i32 v29, s59, v29                                    // 00000000984C: D29C001D 00023A3B
	v_sub_i32 v29, v29, v28                                    // 000000009854: D29D001D 0002391D
	v_cmp_ge_i32_e64 vcc, v29, s100                            // 00000000985C: D0C6006A 0000C91D
	v_sub_i32 v29, 0, v29                                      // 000000009864: D29D001D 00023A80
	v_cndmask_b32_e32 v52, v52, v151, vcc                      // 00000000986C: 00692F34
	v_cmp_ge_i32_e64 vcc, v29, s99                             // 000000009870: D0C6006A 0000C71D
	s_nop 1                                                    // 000000009878: BF800001
	v_cndmask_b32_e32 v52, v52, v151, vcc                      // 00000000987C: 00692F34
	v_and_b32_e32 v28, 15, v0                                  // 000000009880: 2638008F
	v_add_u32_e32 v28, s62, v28                                // 000000009884: 6838383E
	v_lshrrev_b32_e32 v29, 4, v0                               // 000000009888: 203A0084
	v_lshlrev_b32_e32 v29, 2, v29                              // 00000000988C: 243A3A82
	v_add_i32 v29, 1, v29                                      // 000000009890: D29C001D 00023A81
	v_add_i32 v29, s59, v29                                    // 000000009898: D29C001D 00023A3B
	v_sub_i32 v29, v29, v28                                    // 0000000098A0: D29D001D 0002391D
	v_cmp_ge_i32_e64 vcc, v29, s100                            // 0000000098A8: D0C6006A 0000C91D
	v_sub_i32 v29, 0, v29                                      // 0000000098B0: D29D001D 00023A80
	v_cndmask_b32_e32 v53, v53, v151, vcc                      // 0000000098B8: 006B2F35
	v_cmp_ge_i32_e64 vcc, v29, s99                             // 0000000098BC: D0C6006A 0000C71D
	s_nop 1                                                    // 0000000098C4: BF800001
	v_cndmask_b32_e32 v53, v53, v151, vcc                      // 0000000098C8: 006B2F35
	v_and_b32_e32 v28, 15, v0                                  // 0000000098CC: 2638008F
	v_add_u32_e32 v28, s62, v28                                // 0000000098D0: 6838383E
	v_lshrrev_b32_e32 v29, 4, v0                               // 0000000098D4: 203A0084
	v_lshlrev_b32_e32 v29, 2, v29                              // 0000000098D8: 243A3A82
	v_add_i32 v29, 2, v29                                      // 0000000098DC: D29C001D 00023A82
	v_add_i32 v29, s59, v29                                    // 0000000098E4: D29C001D 00023A3B
	v_sub_i32 v29, v29, v28                                    // 0000000098EC: D29D001D 0002391D
	v_cmp_ge_i32_e64 vcc, v29, s100                            // 0000000098F4: D0C6006A 0000C91D
	v_sub_i32 v29, 0, v29                                      // 0000000098FC: D29D001D 00023A80
	v_cndmask_b32_e32 v54, v54, v151, vcc                      // 000000009904: 006D2F36
	v_cmp_ge_i32_e64 vcc, v29, s99                             // 000000009908: D0C6006A 0000C71D
	s_nop 1                                                    // 000000009910: BF800001
	v_cndmask_b32_e32 v54, v54, v151, vcc                      // 000000009914: 006D2F36
	v_and_b32_e32 v28, 15, v0                                  // 000000009918: 2638008F
	v_add_u32_e32 v28, s62, v28                                // 00000000991C: 6838383E
	v_lshrrev_b32_e32 v29, 4, v0                               // 000000009920: 203A0084
	v_lshlrev_b32_e32 v29, 2, v29                              // 000000009924: 243A3A82
	v_add_i32 v29, 3, v29                                      // 000000009928: D29C001D 00023A83
	v_add_i32 v29, s59, v29                                    // 000000009930: D29C001D 00023A3B
	v_sub_i32 v29, v29, v28                                    // 000000009938: D29D001D 0002391D
	v_cmp_ge_i32_e64 vcc, v29, s100                            // 000000009940: D0C6006A 0000C91D
	v_sub_i32 v29, 0, v29                                      // 000000009948: D29D001D 00023A80
	v_cndmask_b32_e32 v55, v55, v151, vcc                      // 000000009950: 006F2F37
	v_cmp_ge_i32_e64 vcc, v29, s99                             // 000000009954: D0C6006A 0000C71D
	s_nop 1                                                    // 00000000995C: BF800001
	v_cndmask_b32_e32 v55, v55, v151, vcc                      // 000000009960: 006F2F37
	s_branch label_1636                                        // 000000009964: BF82FF4A

0000000000009968 <label_16ED>:
	v_mov_b32_e32 v52, v151                                    // 000000009968: 7E680397
	v_mov_b32_e32 v53, v151                                    // 00000000996C: 7E6A0397
	v_mov_b32_e32 v54, v151                                    // 000000009970: 7E6C0397
	v_mov_b32_e32 v55, v151                                    // 000000009974: 7E6E0397
	s_branch label_1636                                        // 000000009978: BF82FF45

000000000000997c <label_16F2>:
	v_and_b32_e32 v28, 15, v0                                  // 00000000997C: 2638008F
	v_add_u32_e32 v28, s62, v28                                // 000000009980: 6838383E
	v_lshrrev_b32_e32 v29, 4, v0                               // 000000009984: 203A0084
	v_lshlrev_b32_e32 v29, 2, v29                              // 000000009988: 243A3A82
	v_add_i32 v29, 0, v29                                      // 00000000998C: D29C001D 00023A80
	v_add_i32 v29, s59, v29                                    // 000000009994: D29C001D 00023A3B
	v_sub_i32 v29, v29, v28                                    // 00000000999C: D29D001D 0002391D
	v_cmp_ge_i32_e64 vcc, v29, s100                            // 0000000099A4: D0C6006A 0000C91D
	v_sub_i32 v29, 0, v29                                      // 0000000099AC: D29D001D 00023A80
	v_cndmask_b32_e32 v56, v56, v151, vcc                      // 0000000099B4: 00712F38
	v_cmp_ge_i32_e64 vcc, v29, s99                             // 0000000099B8: D0C6006A 0000C71D
	s_nop 1                                                    // 0000000099C0: BF800001
	v_cndmask_b32_e32 v56, v56, v151, vcc                      // 0000000099C4: 00712F38
	v_and_b32_e32 v28, 15, v0                                  // 0000000099C8: 2638008F
	v_add_u32_e32 v28, s62, v28                                // 0000000099CC: 6838383E
	v_lshrrev_b32_e32 v29, 4, v0                               // 0000000099D0: 203A0084
	v_lshlrev_b32_e32 v29, 2, v29                              // 0000000099D4: 243A3A82
	v_add_i32 v29, 1, v29                                      // 0000000099D8: D29C001D 00023A81
	v_add_i32 v29, s59, v29                                    // 0000000099E0: D29C001D 00023A3B
	v_sub_i32 v29, v29, v28                                    // 0000000099E8: D29D001D 0002391D
	v_cmp_ge_i32_e64 vcc, v29, s100                            // 0000000099F0: D0C6006A 0000C91D
	v_sub_i32 v29, 0, v29                                      // 0000000099F8: D29D001D 00023A80
	v_cndmask_b32_e32 v57, v57, v151, vcc                      // 000000009A00: 00732F39
	v_cmp_ge_i32_e64 vcc, v29, s99                             // 000000009A04: D0C6006A 0000C71D
	s_nop 1                                                    // 000000009A0C: BF800001
	v_cndmask_b32_e32 v57, v57, v151, vcc                      // 000000009A10: 00732F39
	v_and_b32_e32 v28, 15, v0                                  // 000000009A14: 2638008F
	v_add_u32_e32 v28, s62, v28                                // 000000009A18: 6838383E
	v_lshrrev_b32_e32 v29, 4, v0                               // 000000009A1C: 203A0084
	v_lshlrev_b32_e32 v29, 2, v29                              // 000000009A20: 243A3A82
	v_add_i32 v29, 2, v29                                      // 000000009A24: D29C001D 00023A82
	v_add_i32 v29, s59, v29                                    // 000000009A2C: D29C001D 00023A3B
	v_sub_i32 v29, v29, v28                                    // 000000009A34: D29D001D 0002391D
	v_cmp_ge_i32_e64 vcc, v29, s100                            // 000000009A3C: D0C6006A 0000C91D
	v_sub_i32 v29, 0, v29                                      // 000000009A44: D29D001D 00023A80
	v_cndmask_b32_e32 v58, v58, v151, vcc                      // 000000009A4C: 00752F3A
	v_cmp_ge_i32_e64 vcc, v29, s99                             // 000000009A50: D0C6006A 0000C71D
	s_nop 1                                                    // 000000009A58: BF800001
	v_cndmask_b32_e32 v58, v58, v151, vcc                      // 000000009A5C: 00752F3A
	v_and_b32_e32 v28, 15, v0                                  // 000000009A60: 2638008F
	v_add_u32_e32 v28, s62, v28                                // 000000009A64: 6838383E
	v_lshrrev_b32_e32 v29, 4, v0                               // 000000009A68: 203A0084
	v_lshlrev_b32_e32 v29, 2, v29                              // 000000009A6C: 243A3A82
	v_add_i32 v29, 3, v29                                      // 000000009A70: D29C001D 00023A83
	v_add_i32 v29, s59, v29                                    // 000000009A78: D29C001D 00023A3B
	v_sub_i32 v29, v29, v28                                    // 000000009A80: D29D001D 0002391D
	v_cmp_ge_i32_e64 vcc, v29, s100                            // 000000009A88: D0C6006A 0000C91D
	v_sub_i32 v29, 0, v29                                      // 000000009A90: D29D001D 00023A80
	v_cndmask_b32_e32 v59, v59, v151, vcc                      // 000000009A98: 00772F3B
	v_cmp_ge_i32_e64 vcc, v29, s99                             // 000000009A9C: D0C6006A 0000C71D
	s_nop 1                                                    // 000000009AA4: BF800001
	v_cndmask_b32_e32 v59, v59, v151, vcc                      // 000000009AA8: 00772F3B
	s_branch label_1744                                        // 000000009AAC: BF820005

0000000000009ab0 <label_173F>:
	v_mov_b32_e32 v56, v151                                    // 000000009AB0: 7E700397
	v_mov_b32_e32 v57, v151                                    // 000000009AB4: 7E720397
	v_mov_b32_e32 v58, v151                                    // 000000009AB8: 7E740397
	v_mov_b32_e32 v59, v151                                    // 000000009ABC: 7E760397
	s_branch label_1744                                        // 000000009AC0: BF820000

0000000000009ac4 <label_1744>:
	s_cmp_lt_i32 s94, 0xc0                                     // 000000009AC4: BF04FF5E 000000C0
	s_cbranch_scc0 label_1799                                  // 000000009ACC: BF84004D
	s_cmp_le_i32 s94, 64                                       // 000000009AD0: BF05C05E
	s_cbranch_scc1 label_1750                                  // 000000009AD4: BF850007
	s_cmp_le_i32 s94, 0x80                                     // 000000009AD8: BF05FF5E 00000080
	s_cbranch_scc1 label_1768                                  // 000000009AE0: BF850017
	s_cmp_lt_i32 s94, 0xc0                                     // 000000009AE4: BF04FF5E 000000C0
	s_cbranch_scc1 label_1780                                  // 000000009AEC: BF85002C
	s_branch label_1799                                        // 000000009AF0: BF820044

0000000000009af4 <label_1750>:
	s_mov_b32 s60, 0                                           // 000000009AF4: BEBC0080
	v_and_b32_e32 v28, 15, v0                                  // 000000009AF8: 2638008F
	v_add_u32_e64 v28, v28, s60                                // 000000009AFC: D134001C 0000791C
	v_mul_i32_i24_e64 v29, s46, 16                             // 000000009B04: D106001D 0001202E
	v_add_u32_e32 v28, v28, v29                                // 000000009B0C: 68383B1C
	v_cmp_lt_u32_e64 s[60:61], v28, s94                        // 000000009B10: D0C9003C 0000BD1C
	s_nop 1                                                    // 000000009B18: BF800001
	v_cndmask_b32_e64 v48, v151, v48, s[60:61]                 // 000000009B1C: D1000030 00F26197
	v_cndmask_b32_e64 v49, v151, v49, s[60:61]                 // 000000009B24: D1000031 00F26397
	v_cndmask_b32_e64 v50, v151, v50, s[60:61]                 // 000000009B2C: D1000032 00F26597
	v_cndmask_b32_e64 v51, v151, v51, s[60:61]                 // 000000009B34: D1000033 00F26797
	s_branch label_177B                                        // 000000009B3C: BF820013

0000000000009b40 <label_1768>:
	s_mov_b32 s60, 64                                          // 000000009B40: BEBC00C0
	v_and_b32_e32 v28, 15, v0                                  // 000000009B44: 2638008F
	v_add_u32_e64 v28, v28, s60                                // 000000009B48: D134001C 0000791C
	v_mul_i32_i24_e64 v29, s46, 16                             // 000000009B50: D106001D 0001202E
	v_add_u32_e32 v28, v28, v29                                // 000000009B58: 68383B1C
	v_cmp_lt_u32_e64 s[60:61], v28, s94                        // 000000009B5C: D0C9003C 0000BD1C
	s_nop 1                                                    // 000000009B64: BF800001
	v_cndmask_b32_e64 v52, v151, v52, s[60:61]                 // 000000009B68: D1000034 00F26997
	v_cndmask_b32_e64 v53, v151, v53, s[60:61]                 // 000000009B70: D1000035 00F26B97
	v_cndmask_b32_e64 v54, v151, v54, s[60:61]                 // 000000009B78: D1000036 00F26D97
	v_cndmask_b32_e64 v55, v151, v55, s[60:61]                 // 000000009B80: D1000037 00F26F97
	s_branch label_1794                                        // 000000009B88: BF820019

0000000000009b8c <label_177B>:
	v_mov_b32_e32 v52, v151                                    // 000000009B8C: 7E680397
	v_mov_b32_e32 v53, v151                                    // 000000009B90: 7E6A0397
	v_mov_b32_e32 v54, v151                                    // 000000009B94: 7E6C0397
	v_mov_b32_e32 v55, v151                                    // 000000009B98: 7E6E0397
	s_branch label_1794                                        // 000000009B9C: BF820014

0000000000009ba0 <label_1780>:
	s_mov_b32 s60, 0x80                                        // 000000009BA0: BEBC00FF 00000080
	v_and_b32_e32 v28, 15, v0                                  // 000000009BA8: 2638008F
	v_add_u32_e64 v28, v28, s60                                // 000000009BAC: D134001C 0000791C
	v_mul_i32_i24_e64 v29, s46, 16                             // 000000009BB4: D106001D 0001202E
	v_add_u32_e32 v28, v28, v29                                // 000000009BBC: 68383B1C
	v_cmp_lt_u32_e64 s[60:61], v28, s94                        // 000000009BC0: D0C9003C 0000BD1C
	s_nop 1                                                    // 000000009BC8: BF800001
	v_cndmask_b32_e64 v56, v151, v56, s[60:61]                 // 000000009BCC: D1000038 00F27197
	v_cndmask_b32_e64 v57, v151, v57, s[60:61]                 // 000000009BD4: D1000039 00F27397
	v_cndmask_b32_e64 v58, v151, v58, s[60:61]                 // 000000009BDC: D100003A 00F27597
	v_cndmask_b32_e64 v59, v151, v59, s[60:61]                 // 000000009BE4: D100003B 00F27797
	s_branch label_1799                                        // 000000009BEC: BF820005

0000000000009bf0 <label_1794>:
	v_mov_b32_e32 v56, v151                                    // 000000009BF0: 7E700397
	v_mov_b32_e32 v57, v151                                    // 000000009BF4: 7E720397
	v_mov_b32_e32 v58, v151                                    // 000000009BF8: 7E740397
	v_mov_b32_e32 v59, v151                                    // 000000009BFC: 7E760397
	s_branch label_1799                                        // 000000009C00: BF820000

0000000000009c04 <label_1799>:
	s_waitcnt lgkmcnt(8)                                       // 000000009C04: BF8CC87F
	s_barrier                                                  // 000000009C08: BF8A0000
	v_mfma_f32_16x16x16_bf16 v[72:75], v[92:93], a[96:97], 0   // 000000009C0C: D3E10048 1202C15C
	v_fma_f32 v48, v48, s57, -v124                             // 000000009C14: D1CB0030 85F07330
	v_fma_f32 v49, v49, s57, -v125                             // 000000009C1C: D1CB0031 85F47331
	v_fma_f32 v50, v50, s57, -v126                             // 000000009C24: D1CB0032 85F87332
	v_mfma_f32_16x16x16_bf16 v[72:75], v[94:95], a[98:99], v[72:75]// 000000009C2C: D3E10048 1522C55E
	ds_read_b128 a[144:147], v12 offset:4352                   // 000000009C34: DBFE1100 9000000C
	ds_read_b128 a[148:151], v12 offset:4864                   // 000000009C3C: DBFE1300 9400000C
	v_mfma_f32_16x16x16_bf16 v[72:75], v[96:97], a[100:101], v[72:75]// 000000009C44: D3E10048 1522C960
	v_fma_f32 v51, v51, s57, -v127                             // 000000009C4C: D1CB0033 85FC7333
	v_fma_f32 v52, v52, s57, -v124                             // 000000009C54: D1CB0034 85F07334
	v_fma_f32 v53, v53, s57, -v125                             // 000000009C5C: D1CB0035 85F47335
	v_mfma_f32_16x16x16_bf16 v[72:75], v[98:99], a[102:103], v[72:75]// 000000009C64: D3E10048 1522CD62
	v_fma_f32 v54, v54, s57, -v126                             // 000000009C6C: D1CB0036 85F87336
	v_fma_f32 v55, v55, s57, -v127                             // 000000009C74: D1CB0037 85FC7337
	v_fma_f32 v56, v56, s57, -v124                             // 000000009C7C: D1CB0038 85F07338
	v_mfma_f32_16x16x16_bf16 v[72:75], v[100:101], a[104:105], v[72:75]// 000000009C84: D3E10048 1522D164
	v_fma_f32 v57, v57, s57, -v125                             // 000000009C8C: D1CB0039 85F47339
	v_fma_f32 v58, v58, s57, -v126                             // 000000009C94: D1CB003A 85F8733A
	v_fma_f32 v59, v59, s57, -v127                             // 000000009C9C: D1CB003B 85FC733B
	v_mfma_f32_16x16x16_bf16 v[72:75], v[102:103], a[106:107], v[72:75]// 000000009CA4: D3E10048 1522D566
	ds_read_b128 a[152:155], v12 offset:6528                   // 000000009CAC: DBFE1980 9800000C
	ds_read_b128 a[156:159], v12 offset:7040                   // 000000009CB4: DBFE1B80 9C00000C
	v_mfma_f32_16x16x16_bf16 v[72:75], v[104:105], a[108:109], v[72:75]// 000000009CBC: D3E10048 1522D968
	v_exp_f32_e32 v48, v48                                     // 000000009CC4: 7E604130
	v_mfma_f32_16x16x16_bf16 v[72:75], v[106:107], a[110:111], v[72:75]// 000000009CC8: D3E10048 1522DD6A
	v_exp_f32_e32 v49, v49                                     // 000000009CD0: 7E624131
	v_mfma_f32_16x16x16_bf16 v[76:79], v[92:93], a[112:113], 0 // 000000009CD4: D3E1004C 1202E15C
	v_exp_f32_e32 v50, v50                                     // 000000009CDC: 7E644132
	v_mfma_f32_16x16x16_bf16 v[76:79], v[94:95], a[114:115], v[76:79]// 000000009CE0: D3E1004C 1532E55E
	ds_read_b64 v[136:137], v19 offset:24320                   // 000000009CE8: D8EC5F00 88000013
	ds_read_b64 v[138:139], v19 offset:26368                   // 000000009CF0: D8EC6700 8A000013
	v_mfma_f32_16x16x16_bf16 v[76:79], v[96:97], a[116:117], v[76:79]// 000000009CF8: D3E1004C 1532E960
	v_exp_f32_e32 v51, v51                                     // 000000009D00: 7E664133
	v_mfma_f32_16x16x16_bf16 v[76:79], v[98:99], a[118:119], v[76:79]// 000000009D04: D3E1004C 1532ED62
	ds_read_b64 v[140:141], v19 offset:28416                   // 000000009D0C: D8EC6F00 8C000013
	ds_read_b64 v[142:143], v19 offset:30464                   // 000000009D14: D8EC7700 8E000013
	v_mfma_f32_16x16x16_bf16 v[76:79], v[100:101], a[120:121], v[76:79]// 000000009D1C: D3E1004C 1532F164
	v_exp_f32_e32 v52, v52                                     // 000000009D24: 7E684134
	v_mfma_f32_16x16x16_bf16 v[76:79], v[102:103], a[122:123], v[76:79]// 000000009D28: D3E1004C 1532F566
	v_exp_f32_e32 v53, v53                                     // 000000009D30: 7E6A4135
	v_mfma_f32_16x16x16_bf16 v[76:79], v[104:105], a[124:125], v[76:79]// 000000009D34: D3E1004C 1532F968
	v_exp_f32_e32 v54, v54                                     // 000000009D3C: 7E6C4136
	v_mfma_f32_16x16x16_bf16 v[76:79], v[106:107], a[126:127], v[76:79]// 000000009D40: D3E1004C 1532FD6A
	v_exp_f32_e32 v55, v55                                     // 000000009D48: 7E6E4137
	v_mfma_f32_16x16x16_bf16 v[80:83], v[92:93], a[128:129], 0 // 000000009D4C: D3E10050 1203015C
	v_exp_f32_e32 v56, v56                                     // 000000009D54: 7E704138
	v_mfma_f32_16x16x16_bf16 v[80:83], v[94:95], a[130:131], v[80:83]// 000000009D58: D3E10050 1543055E
	v_exp_f32_e32 v57, v57                                     // 000000009D60: 7E724139
	v_mfma_f32_16x16x16_bf16 v[80:83], v[96:97], a[132:133], v[80:83]// 000000009D64: D3E10050 15430960
	v_exp_f32_e32 v58, v58                                     // 000000009D6C: 7E74413A
	v_mfma_f32_16x16x16_bf16 v[80:83], v[98:99], a[134:135], v[80:83]// 000000009D70: D3E10050 15430D62
	v_exp_f32_e32 v59, v59                                     // 000000009D78: 7E76413B
	v_mfma_f32_16x16x16_bf16 v[80:83], v[100:101], a[136:137], v[80:83]// 000000009D7C: D3E10050 15431164
	v_perm_b32 v144, v49, v48, s64                             // 000000009D84: D1ED0090 01026131
	v_perm_b32 v145, v51, v50, s64                             // 000000009D8C: D1ED0091 01026533
	v_perm_b32 v146, v53, v52, s64                             // 000000009D94: D1ED0092 01026935
	v_mfma_f32_16x16x16_bf16 v[80:83], v[102:103], a[138:139], v[80:83]// 000000009D9C: D3E10050 15431566
	v_perm_b32 v147, v55, v54, s64                             // 000000009DA4: D1ED0093 01026D37
	v_perm_b32 v148, v57, v56, s64                             // 000000009DAC: D1ED0094 01027139
	v_perm_b32 v149, v59, v58, s64                             // 000000009DB4: D1ED0095 0102753B
	v_mfma_f32_16x16x16_bf16 v[80:83], v[104:105], a[140:141], v[80:83]// 000000009DBC: D3E10050 15431968
	v_add_u32_e32 v7, s66, v7                                  // 000000009DC4: 680E0E42
	v_add_u32_e32 v8, s66, v8                                  // 000000009DC8: 68101042
	v_mfma_f32_16x16x16_bf16 v[80:83], v[106:107], a[142:143], v[80:83]// 000000009DCC: D3E10050 15431D6A
	s_waitcnt lgkmcnt(0)                                       // 000000009DD4: BF8CC07F
	s_barrier                                                  // 000000009DD8: BF8A0000
	v_mfma_f32_16x16x16_bf16 v[152:155], v[108:109], v[144:145], v[152:155]// 000000009DDC: D3E10098 0663216C
	v_subrev_f32_dpp v72, v150, v72 quad_perm:[0,0,0,0] row_mask:0xf bank_mask:0xf// 000000009DE4: 069090FA FF000096
	v_subrev_f32_dpp v73, v150, v73 quad_perm:[1,1,1,1] row_mask:0xf bank_mask:0xf// 000000009DEC: 069292FA FF005596
	v_subrev_f32_dpp v74, v150, v74 quad_perm:[2,2,2,2] row_mask:0xf bank_mask:0xf// 000000009DF4: 069494FA FF00AA96
	v_mfma_f32_16x16x16_bf16 v[156:159], v[110:111], v[144:145], v[156:159]// 000000009DFC: D3E1009C 0673216E
	v_subrev_f32_dpp v75, v150, v75 quad_perm:[3,3,3,3] row_mask:0xf bank_mask:0xf// 000000009E04: 069696FA FF00FF96
	v_subrev_f32_dpp v76, v150, v76 quad_perm:[0,0,0,0] row_mask:0xf bank_mask:0xf// 000000009E0C: 069898FA FF000096
	v_subrev_f32_dpp v77, v150, v77 quad_perm:[1,1,1,1] row_mask:0xf bank_mask:0xf// 000000009E14: 069A9AFA FF005596
	v_mfma_f32_16x16x16_bf16 v[160:163], v[112:113], v[144:145], v[160:163]// 000000009E1C: D3E100A0 06832170
	v_mul_f32_e32 v72, v48, v72                                // 000000009E24: 0A909130
	v_mul_f32_e32 v73, v49, v73                                // 000000009E28: 0A929331
	v_mul_f32_e32 v74, v50, v74                                // 000000009E2C: 0A949532
	v_mfma_f32_16x16x16_bf16 v[164:167], v[114:115], v[144:145], v[164:167]// 000000009E30: D3E100A4 06932172
	v_mul_f32_e32 v75, v51, v75                                // 000000009E38: 0A969733
	v_mul_f32_e32 v76, v52, v76                                // 000000009E3C: 0A989934
	v_mul_f32_e32 v77, v53, v77                                // 000000009E40: 0A9A9B35
	v_mfma_f32_16x16x16_bf16 v[168:171], v[116:117], v[144:145], v[168:171]// 000000009E44: D3E100A8 06A32174
	v_perm_b32 v72, v73, v72, s64                              // 000000009E4C: D1ED0048 01029149
	v_perm_b32 v73, v75, v74, s64                              // 000000009E54: D1ED0049 0102954B
	v_perm_b32 v74, v77, v76, s64                              // 000000009E5C: D1ED004A 0102994D
	v_mfma_f32_16x16x16_bf16 v[172:175], v[118:119], v[144:145], v[172:175]// 000000009E64: D3E100AC 06B32176
	v_mov_b32_dpp v16, v72 quad_perm:[1,0,3,2] row_mask:0xf bank_mask:0xf// 000000009E6C: 7E2002FA FF00B148
	v_perm_b32 v48, v16, v72, v15                              // 000000009E74: D1ED0030 043E9110
	v_mov_b32_dpp v16, v73 quad_perm:[1,0,3,2] row_mask:0xf bank_mask:0xf// 000000009E7C: 7E2002FA FF00B149
	v_mfma_f32_16x16x16_bf16 v[176:179], v[120:121], v[144:145], v[176:179]// 000000009E84: D3E100B0 06C32178
	ds_write_b32 v18, v48 offset:17408                         // 000000009E8C: D81A4400 00003012
	v_mfma_f32_16x16x16_bf16 v[180:183], v[122:123], v[144:145], v[180:183]// 000000009E94: D3E100B4 06D3217A
	v_perm_b32 v49, v16, v73, v15                              // 000000009E9C: D1ED0031 043E9310
	v_mov_b32_dpp v16, v74 quad_perm:[1,0,3,2] row_mask:0xf bank_mask:0xf// 000000009EA4: 7E2002FA FF00B14A
	v_perm_b32 v50, v16, v74, v15                              // 000000009EAC: D1ED0032 043E9510
	v_mfma_f32_16x16x16_bf16 v[184:187], v[108:109], v[146:147], v[184:187]// 000000009EB4: D3E100B8 06E3256C
	ds_write_b32 v18, v49 offset:17952                         // 000000009EBC: D81A4620 00003112
	v_mfma_f32_16x16x16_bf16 v[188:191], v[110:111], v[146:147], v[188:191]// 000000009EC4: D3E100BC 06F3256E
	v_subrev_f32_dpp v78, v150, v78 quad_perm:[2,2,2,2] row_mask:0xf bank_mask:0xf// 000000009ECC: 069C9CFA FF00AA96
	v_subrev_f32_dpp v79, v150, v79 quad_perm:[3,3,3,3] row_mask:0xf bank_mask:0xf// 000000009ED4: 069E9EFA FF00FF96
	v_subrev_f32_dpp v80, v150, v80 quad_perm:[0,0,0,0] row_mask:0xf bank_mask:0xf// 000000009EDC: 06A0A0FA FF000096
	v_mfma_f32_16x16x16_bf16 v[192:195], v[112:113], v[146:147], v[192:195]// 000000009EE4: D3E100C0 07032570
	ds_write_b32 v18, v50 offset:19712                         // 000000009EEC: D81A4D00 00003212
	v_mfma_f32_16x16x16_bf16 v[196:199], v[114:115], v[146:147], v[196:199]// 000000009EF4: D3E100C4 07132572
	v_subrev_f32_dpp v81, v150, v81 quad_perm:[1,1,1,1] row_mask:0xf bank_mask:0xf// 000000009EFC: 06A2A2FA FF005596
	v_subrev_f32_dpp v82, v150, v82 quad_perm:[2,2,2,2] row_mask:0xf bank_mask:0xf// 000000009F04: 06A4A4FA FF00AA96
	v_subrev_f32_dpp v83, v150, v83 quad_perm:[3,3,3,3] row_mask:0xf bank_mask:0xf// 000000009F0C: 06A6A6FA FF00FF96
	v_mfma_f32_16x16x16_bf16 v[200:203], v[116:117], v[146:147], v[200:203]// 000000009F14: D3E100C8 07232574
	v_mul_f32_e32 v78, v54, v78                                // 000000009F1C: 0A9C9D36
	v_mul_f32_e32 v79, v55, v79                                // 000000009F20: 0A9E9F37
	v_mul_f32_e32 v80, v56, v80                                // 000000009F24: 0AA0A138
	v_mfma_f32_16x16x16_bf16 v[204:207], v[118:119], v[146:147], v[204:207]// 000000009F28: D3E100CC 07332576
	v_mul_f32_e32 v81, v57, v81                                // 000000009F30: 0AA2A339
	v_mul_f32_e32 v82, v58, v82                                // 000000009F34: 0AA4A53A
	v_mul_f32_e32 v83, v59, v83                                // 000000009F38: 0AA6A73B
	v_mfma_f32_16x16x16_bf16 v[208:211], v[120:121], v[146:147], v[208:211]// 000000009F3C: D3E100D0 07432578
	v_perm_b32 v75, v79, v78, s64                              // 000000009F44: D1ED004B 01029D4F
	v_perm_b32 v76, v81, v80, s64                              // 000000009F4C: D1ED004C 0102A151
	v_perm_b32 v77, v83, v82, s64                              // 000000009F54: D1ED004D 0102A553
	v_mfma_f32_16x16x16_bf16 v[212:215], v[122:123], v[146:147], v[212:215]// 000000009F5C: D3E100D4 0753257A
	v_mov_b32_dpp v16, v75 quad_perm:[1,0,3,2] row_mask:0xf bank_mask:0xf// 000000009F64: 7E2002FA FF00B14B
	v_perm_b32 v51, v16, v75, v15                              // 000000009F6C: D1ED0033 043E9710
	v_mov_b32_dpp v16, v76 quad_perm:[1,0,3,2] row_mask:0xf bank_mask:0xf// 000000009F74: 7E2002FA FF00B14C
	v_mfma_f32_16x16x16_bf16 v[216:219], v[108:109], v[148:149], v[216:219]// 000000009F7C: D3E100D8 0763296C
	ds_write_b32 v18, v51 offset:20256                         // 000000009F84: D81A4F20 00003312
	v_mfma_f32_16x16x16_bf16 v[220:223], v[110:111], v[148:149], v[220:223]// 000000009F8C: D3E100DC 0773296E
	v_perm_b32 v52, v16, v76, v15                              // 000000009F94: D1ED0034 043E9910
	v_mov_b32_dpp v16, v77 quad_perm:[1,0,3,2] row_mask:0xf bank_mask:0xf// 000000009F9C: 7E2002FA FF00B14D
	v_perm_b32 v53, v16, v77, v15                              // 000000009FA4: D1ED0035 043E9B10
	v_mfma_f32_16x16x16_bf16 v[224:227], v[112:113], v[148:149], v[224:227]// 000000009FAC: D3E100E0 07832970
	ds_write_b32 v18, v52 offset:22016                         // 000000009FB4: D81A5600 00003412
	ds_write_b32 v18, v53 offset:22560                         // 000000009FBC: D81A5820 00003512
	v_mfma_f32_16x16x16_bf16 v[228:231], v[114:115], v[148:149], v[228:231]// 000000009FC4: D3E100E4 07932972
	v_mfma_f32_16x16x16_bf16 v[232:235], v[116:117], v[148:149], v[232:235]// 000000009FCC: D3E100E8 07A32974
	ds_write_b32 v13, v84 offset:4352                          // 000000009FD4: D81A1100 0000540D
	ds_write_b32 v13, v85 offset:5408                          // 000000009FDC: D81A1520 0000550D
	v_mfma_f32_16x16x16_bf16 v[236:239], v[118:119], v[148:149], v[236:239]// 000000009FE4: D3E100EC 07B32976
	v_mfma_f32_16x16x16_bf16 v[240:243], v[120:121], v[148:149], v[240:243]// 000000009FEC: D3E100F0 07C32978
	ds_write_b32 v13, v86 offset:4480                          // 000000009FF4: D81A1180 0000560D
	ds_write_b32 v13, v87 offset:5536                          // 000000009FFC: D81A15A0 0000570D
	v_mfma_f32_16x16x16_bf16 v[244:247], v[122:123], v[148:149], v[244:247]// 00000000A004: D3E100F4 07D3297A
	s_nop 0                                                    // 00000000A00C: BF800000
	s_nop 0                                                    // 00000000A010: BF800000
	s_nop 0                                                    // 00000000A014: BF800000
	s_barrier                                                  // 00000000A018: BF8A0000
	v_mfma_f32_16x16x16_bf16 a[160:163], a[144:145], v[72:73], a[160:163]// 00000000A01C: D3E180A0 0E829190
	ds_read_b32 v124, v21 offset:50688                         // 00000000A024: D86CC600 7C000015
	ds_read_b32 v150, v21 offset:50944                         // 00000000A02C: D86CC700 96000015
	v_mfma_f32_16x16x16_bf16 a[164:167], a[146:147], v[72:73], a[164:167]// 00000000A034: D3E180A4 0E929192
	buffer_atomic_add_f32 v136, v7, s[32:35], 0 offen          // 00000000A03C: E1341000 80088807
	v_mfma_f32_16x16x16_bf16 a[168:171], a[148:149], v[72:73], a[168:171]// 00000000A044: D3E180A8 0EA29194
	s_waitcnt lgkmcnt(6)                                       // 00000000A04C: BF8CC67F
	s_barrier                                                  // 00000000A050: BF8A0000
	v_mfma_f32_16x16x16_bf16 a[172:175], a[150:151], v[72:73], a[172:175]// 00000000A054: D3E180AC 0EB29196
	v_mfma_f32_16x16x16_bf16 a[176:179], a[152:153], v[72:73], a[176:179]// 00000000A05C: D3E180B0 0EC29198
	ds_read_b128 v[48:51], v17 offset:17408                    // 00000000A064: D9FE4400 30000011
	v_mfma_f32_16x16x16_bf16 a[180:183], a[154:155], v[72:73], a[180:183]// 00000000A06C: D3E180B4 0ED2919A
	v_mfma_f32_16x16x16_bf16 a[184:187], a[156:157], v[72:73], a[184:187]// 00000000A074: D3E180B8 0EE2919C
	ds_read_b128 v[52:55], v17 offset:18560                    // 00000000A07C: D9FE4880 34000011
	v_mfma_f32_16x16x16_bf16 a[188:191], a[158:159], v[72:73], a[188:191]// 00000000A084: D3E180BC 0EF2919E
	buffer_atomic_add_f32 v137, v8, s[32:35], 0 offen          // 00000000A08C: E1341000 80088908
	v_mfma_f32_16x16x16_bf16 a[192:195], a[144:145], v[74:75], a[192:195]// 00000000A094: D3E180C0 0F029590
	ds_read_b128 v[56:59], v17 offset:19712                    // 00000000A09C: D9FE4D00 38000011
	v_mfma_f32_16x16x16_bf16 a[196:199], a[146:147], v[74:75], a[196:199]// 00000000A0A4: D3E180C4 0F129592
	v_mfma_f32_16x16x16_bf16 a[200:203], a[148:149], v[74:75], a[200:203]// 00000000A0AC: D3E180C8 0F229594
	ds_read_b128 v[60:63], v17 offset:20864                    // 00000000A0B4: D9FE5180 3C000011
	v_mfma_f32_16x16x16_bf16 a[204:207], a[150:151], v[74:75], a[204:207]// 00000000A0BC: D3E180CC 0F329596
	v_mfma_f32_16x16x16_bf16 a[208:211], a[152:153], v[74:75], a[208:211]// 00000000A0C4: D3E180D0 0F429598
	ds_read_b128 v[64:67], v17 offset:22016                    // 00000000A0CC: D9FE5600 40000011
	v_mfma_f32_16x16x16_bf16 a[212:215], a[154:155], v[74:75], a[212:215]// 00000000A0D4: D3E180D4 0F52959A
	buffer_atomic_add_f32 v138, v7, s[32:35], 0 offen offset:128// 00000000A0DC: E1341080 80088A07
	v_mfma_f32_16x16x16_bf16 a[216:219], a[156:157], v[74:75], a[216:219]// 00000000A0E4: D3E180D8 0F62959C
	ds_read_b128 v[68:71], v17 offset:23168                    // 00000000A0EC: D9FE5A80 44000011
	v_mfma_f32_16x16x16_bf16 a[220:223], a[158:159], v[74:75], a[220:223]// 00000000A0F4: D3E180DC 0F72959E
	v_mfma_f32_16x16x16_bf16 a[224:227], a[144:145], v[76:77], a[224:227]// 00000000A0FC: D3E180E0 0F829990
	ds_write_b32 v13, v88 offset:13056                         // 00000000A104: D81A3300 0000580D
	v_mfma_f32_16x16x16_bf16 a[228:231], a[146:147], v[76:77], a[228:231]// 00000000A10C: D3E180E4 0F929992
	v_mfma_f32_16x16x16_bf16 a[232:235], a[148:149], v[76:77], a[232:235]// 00000000A114: D3E180E8 0FA29994
	ds_write_b32 v13, v89 offset:14112                         // 00000000A11C: D81A3720 0000590D
	v_mfma_f32_16x16x16_bf16 a[236:239], a[150:151], v[76:77], a[236:239]// 00000000A124: D3E180EC 0FB29996
	buffer_atomic_add_f32 v139, v8, s[32:35], 0 offen offset:128// 00000000A12C: E1341080 80088B08
	v_mfma_f32_16x16x16_bf16 a[240:243], a[152:153], v[76:77], a[240:243]// 00000000A134: D3E180F0 0FC29998
	ds_write_b32 v13, v90 offset:13184                         // 00000000A13C: D81A3380 00005A0D
	v_mfma_f32_16x16x16_bf16 a[244:247], a[154:155], v[76:77], a[244:247]// 00000000A144: D3E180F4 0FD2999A
	v_mfma_f32_16x16x16_bf16 a[248:251], a[156:157], v[76:77], a[248:251]// 00000000A14C: D3E180F8 0FE2999C
	ds_write_b32 v13, v91 offset:14240                         // 00000000A154: D81A37A0 00005B0D
	v_mfma_f32_16x16x16_bf16 a[252:255], a[158:159], v[76:77], a[252:255]// 00000000A15C: D3E180FC 0FF2999E
	s_waitcnt vmcnt(8) lgkmcnt(4)                              // 00000000A164: BF8C0478
	s_barrier                                                  // 00000000A168: BF8A0000
	v_mfma_f32_16x16x16_bf16 v[128:131], v[48:49], a[48:49], 0 // 00000000A16C: D3E10080 12026130
	ds_read_b128 a[144:147], v10                               // 00000000A174: DBFE0000 9000000A
	v_mov_b32_e32 v32, 0                                       // 00000000A17C: 7E400280
	s_mov_b64 exec, s[88:89]                                   // 00000000A180: BEFE0158
	buffer_load_dword v32, v1, s[8:11], 0 idxen                // 00000000A184: E0502000 80022001
	s_mov_b64 exec, s[86:87]                                   // 00000000A18C: BEFE0156
	v_mfma_f32_16x16x16_bf16 v[128:131], v[50:51], a[52:53], v[128:131]// 00000000A190: D3E10080 16026932
	v_cmp_eq_u32_e32 vcc, v124, v151                           // 00000000A198: 7D952F7C
	v_mov_b32_e32 v28, 0                                       // 00000000A19C: 7E380280
	v_cndmask_b32_e32 v124, v124, v28, vcc                     // 00000000A1A0: 00F8397C
	v_mul_f32_e32 v124, s48, v124                              // 00000000A1A4: 0AF8F830
	s_nop 0                                                    // 00000000A1A8: BF800000
	v_mfma_f32_16x16x16_bf16 v[128:131], v[52:53], a[56:57], v[128:131]// 00000000A1AC: D3E10080 16027134
	ds_read_b128 a[148:151], v10 offset:512                    // 00000000A1B4: DBFE0200 9400000A
	v_mov_b32_e32 v33, 0                                       // 00000000A1BC: 7E420280
	s_mov_b64 exec, s[88:89]                                   // 00000000A1C0: BEFE0158
	buffer_load_dword v33, v2, s[8:11], 0 idxen                // 00000000A1C4: E0502000 80022102
	s_mov_b64 exec, s[86:87]                                   // 00000000A1CC: BEFE0156
	v_mfma_f32_16x16x16_bf16 v[128:131], v[54:55], a[60:61], v[128:131]// 00000000A1D0: D3E10080 16027936
	v_mfma_f32_16x16x16_bf16 v[128:131], v[56:57], a[64:65], v[128:131]// 00000000A1D8: D3E10080 16028138
	ds_read_b128 a[152:155], v10 offset:2176                   // 00000000A1E0: DBFE0880 9800000A
	v_mov_b32_e32 v34, 0                                       // 00000000A1E8: 7E440280
	s_mov_b64 exec, s[88:89]                                   // 00000000A1EC: BEFE0158
	buffer_load_dword v34, v3, s[8:11], 0 idxen                // 00000000A1F0: E0502000 80022203
	s_mov_b64 exec, s[86:87]                                   // 00000000A1F8: BEFE0156
	v_mfma_f32_16x16x16_bf16 v[128:131], v[58:59], a[68:69], v[128:131]// 00000000A1FC: D3E10080 1602893A
	v_perm_b32 v84, v37, v36, s63                              // 00000000A204: D1ED0054 00FE4925
	v_perm_b32 v85, v37, v36, s64                              // 00000000A20C: D1ED0055 01024925
	v_mfma_f32_16x16x16_bf16 v[128:131], v[60:61], a[72:73], v[128:131]// 00000000A214: D3E10080 1602913C
	ds_read_b128 a[156:159], v10 offset:2688                   // 00000000A21C: DBFE0A80 9C00000A
	v_mov_b32_e32 v35, 0                                       // 00000000A224: 7E460280
	s_mov_b64 exec, s[88:89]                                   // 00000000A228: BEFE0158
	buffer_load_dword v35, v4, s[8:11], 0 idxen                // 00000000A22C: E0502000 80022304
	s_mov_b64 exec, s[86:87]                                   // 00000000A234: BEFE0156
	v_mfma_f32_16x16x16_bf16 v[128:131], v[62:63], a[76:77], v[128:131]// 00000000A238: D3E10080 1602993E
	v_perm_b32 v86, v39, v38, s63                              // 00000000A240: D1ED0056 00FE4D27
	v_perm_b32 v87, v39, v38, s64                              // 00000000A248: D1ED0057 01024D27
	v_mfma_f32_16x16x16_bf16 v[128:131], v[64:65], a[80:81], v[128:131]// 00000000A250: D3E10080 1602A140
	ds_read_b128 v[92:95], v10 offset:8704                     // 00000000A258: D9FE2200 5C00000A
	v_mov_b32_e32 v40, 0                                       // 00000000A260: 7E500280
	s_mov_b64 exec, s[88:89]                                   // 00000000A264: BEFE0158
	buffer_load_dword v40, v252, s[20:23], 0 idxen             // 00000000A268: E0502000 800528FC
	s_mov_b64 exec, s[86:87]                                   // 00000000A270: BEFE0156
	v_mfma_f32_16x16x16_bf16 v[128:131], v[66:67], a[84:85], v[128:131]// 00000000A274: D3E10080 1602A942
	v_perm_b32 v88, v45, v44, s63                              // 00000000A27C: D1ED0058 00FE592D
	v_perm_b32 v89, v45, v44, s64                              // 00000000A284: D1ED0059 0102592D
	v_mfma_f32_16x16x16_bf16 v[128:131], v[68:69], a[88:89], v[128:131]// 00000000A28C: D3E10080 1602B144
	ds_read_b128 v[96:99], v10 offset:9216                     // 00000000A294: D9FE2400 6000000A
	v_mov_b32_e32 v41, 0                                       // 00000000A29C: 7E520280
	s_mov_b64 exec, s[88:89]                                   // 00000000A2A0: BEFE0158
	buffer_load_dword v41, v253, s[20:23], 0 idxen             // 00000000A2A4: E0502000 800529FD
	s_mov_b64 exec, s[86:87]                                   // 00000000A2AC: BEFE0156
	v_mfma_f32_16x16x16_bf16 v[128:131], v[70:71], a[92:93], v[128:131]// 00000000A2B0: D3E10080 1602B946
	v_perm_b32 v90, v47, v46, s63                              // 00000000A2B8: D1ED005A 00FE5D2F
	v_perm_b32 v91, v47, v46, s64                              // 00000000A2C0: D1ED005B 01025D2F
	v_mfma_f32_16x16x16_bf16 v[132:135], v[48:49], a[50:51], 0 // 00000000A2C8: D3E10084 12026530
	ds_read_b128 v[100:103], v10 offset:10880                  // 00000000A2D0: D9FE2A80 6400000A
	v_mov_b32_e32 v42, 0                                       // 00000000A2D8: 7E540280
	s_mov_b64 exec, s[88:89]                                   // 00000000A2DC: BEFE0158
	buffer_load_dword v42, v254, s[20:23], 0 idxen             // 00000000A2E0: E0502000 80052AFE
	s_mov_b64 exec, s[86:87]                                   // 00000000A2E8: BEFE0156
	v_mfma_f32_16x16x16_bf16 v[132:135], v[50:51], a[54:55], v[132:135]// 00000000A2EC: D3E10084 16126D32
	v_mov_b32_dpp v127, v124 quad_perm:[3,3,3,3] row_mask:0xf bank_mask:0xf// 00000000A2F4: 7EFE02FA FF00FF7C
	v_mov_b32_dpp v126, v124 quad_perm:[2,2,2,2] row_mask:0xf bank_mask:0xf// 00000000A2FC: 7EFC02FA FF00AA7C
	v_mfma_f32_16x16x16_bf16 v[132:135], v[52:53], a[58:59], v[132:135]// 00000000A304: D3E10084 16127534
	ds_read_b128 v[104:107], v10 offset:11392                  // 00000000A30C: D9FE2C80 6800000A
	v_mov_b32_e32 v43, 0                                       // 00000000A314: 7E560280
	s_mov_b64 exec, s[88:89]                                   // 00000000A318: BEFE0158
	buffer_load_dword v43, v255, s[20:23], 0 idxen             // 00000000A31C: E0502000 80052BFF
	s_mov_b64 exec, s[86:87]                                   // 00000000A324: BEFE0156
	v_mfma_f32_16x16x16_bf16 v[132:135], v[54:55], a[62:63], v[132:135]// 00000000A328: D3E10084 16127D36
	v_mov_b32_dpp v125, v124 quad_perm:[1,1,1,1] row_mask:0xf bank_mask:0xf// 00000000A330: 7EFA02FA FF00557C
	v_mov_b32_dpp v124, v124 quad_perm:[0,0,0,0] row_mask:0xf bank_mask:0xf// 00000000A338: 7EF802FA FF00007C
	s_add_u32 s60, 64, s59                                     // 00000000A340: 803C3BC0
	v_mfma_f32_16x16x16_bf16 v[132:135], v[56:57], a[66:67], v[132:135]// 00000000A344: D3E10084 16128538
	buffer_load_dword v9, s[24:27], 0 idxen lds                // 00000000A34C: E0512000 80060009
	v_mfma_f32_16x16x16_bf16 v[132:135], v[58:59], a[70:71], v[132:135]// 00000000A354: D3E10084 16128D3A
	s_cmp_lt_u32 s60, s58                                      // 00000000A35C: BF0A3A3C
	s_cselect_b32 s68, s68, 0                                  // 00000000A360: 85448044
	s_cselect_b32 s97, s97, 0                                  // 00000000A364: 85618061
	s_cselect_b32 s69, s69, 0                                  // 00000000A368: 85458045
	v_mfma_f32_16x16x16_bf16 v[132:135], v[60:61], a[74:75], v[132:135]// 00000000A36C: D3E10084 1612953C
	v_add_u32_e32 v1, s68, v1                                  // 00000000A374: 68020244
	v_add_u32_e32 v2, s68, v2                                  // 00000000A378: 68040444
	v_add_u32_e32 v3, s68, v3                                  // 00000000A37C: 68060644
	v_add_u32_e32 v4, s68, v4                                  // 00000000A380: 68080844
	v_mfma_f32_16x16x16_bf16 v[132:135], v[62:63], a[78:79], v[132:135]// 00000000A384: D3E10084 16129D3E
	v_add_u32_e32 v252, s97, v252                              // 00000000A38C: 69F9F861
	v_add_u32_e32 v253, s97, v253                              // 00000000A390: 69FBFA61
	v_add_u32_e32 v254, s97, v254                              // 00000000A394: 69FDFC61
	v_add_u32_e32 v255, s97, v255                              // 00000000A398: 69FFFE61
	v_mfma_f32_16x16x16_bf16 v[132:135], v[64:65], a[82:83], v[132:135]// 00000000A39C: D3E10084 1612A540
	s_mov_b32 m0, s77                                          // 00000000A3A4: BEFC004D
	v_add_u32_e32 v9, s69, v9                                  // 00000000A3A8: 68121245
	v_mfma_f32_16x16x16_bf16 v[132:135], v[66:67], a[86:87], v[132:135]// 00000000A3AC: D3E10084 1612AD42
	s_cmp_ge_u32 s59, s101                                     // 00000000A3B4: BF09653B
	s_cselect_b32 s66, s67, s66                                // 00000000A3B8: 85424243
	v_mfma_f32_16x16x16_bf16 v[132:135], v[68:69], a[90:91], v[132:135]// 00000000A3BC: D3E10084 1612B544
	s_addk_i32 s59, 0x10                                       // 00000000A3C4: B73B0010
	s_nop 0                                                    // 00000000A3C8: BF800000
	s_cmp_lt_i32 s59, s58                                      // 00000000A3CC: BF043A3B
	v_mfma_f32_16x16x16_bf16 v[132:135], v[70:71], a[94:95], v[132:135]// 00000000A3D0: D3E10084 1612BD46
	s_cbranch_scc0 label_11AE                                  // 00000000A3D8: BF84F82B
	s_branch label_11B1                                        // 00000000A3DC: BF82F82D

000000000000a3e0 <label_1990>:
	buffer_atomic_add_f32 v140, v7, s[32:35], 0 offen offset:256// 00000000A3E0: E1341100 80088C07
	buffer_atomic_add_f32 v141, v8, s[32:35], 0 offen offset:256// 00000000A3E8: E1341100 80088D08
	buffer_atomic_add_f32 v142, v7, s[32:35], 0 offen offset:384// 00000000A3F0: E1341180 80088E07
	buffer_atomic_add_f32 v143, v8, s[32:35], 0 offen offset:384// 00000000A3F8: E1341180 80088F08
	v_add_u32_e32 v7, s66, v7                                  // 00000000A400: 680E0E42
	v_add_u32_e32 v8, s66, v8                                  // 00000000A404: 68101042
	v_lshrrev_b32_e32 v28, 5, v0                               // 00000000A408: 20380085
	v_mul_i32_i24_e32 v25, 0x42, v28                           // 00000000A40C: 0C3238FF 00000042
	v_and_b32_e32 v28, 31, v0                                  // 00000000A414: 2638009F
	v_mul_i32_i24_e32 v29, 2, v28                              // 00000000A418: 0C3A3882
	v_add_u32_e32 v25, v29, v25                                // 00000000A41C: 6832331D
	s_mul_i32 s60, s46, 0x420                                  // 00000000A420: 923CFF2E 00000420
	v_add_u32_e32 v25, s60, v25                                // 00000000A428: 6832323C
	v_lshlrev_b32_e32 v25, 2, v25                              // 00000000A42C: 24323282
	v_mul_f32_e32 v128, s47, v128                              // 00000000A430: 0B01002F
	v_mul_f32_e32 v129, s47, v129                              // 00000000A434: 0B03022F
	v_mul_f32_e32 v130, s47, v130                              // 00000000A438: 0B05042F
	v_mul_f32_e32 v131, s47, v131                              // 00000000A43C: 0B07062F
	v_mul_f32_e32 v132, s47, v132                              // 00000000A440: 0B09082F
	v_mul_f32_e32 v133, s47, v133                              // 00000000A444: 0B0B0A2F
	v_mul_f32_e32 v134, s47, v134                              // 00000000A448: 0B0D0C2F
	v_mul_f32_e32 v135, s47, v135                              // 00000000A44C: 0B0F0E2F
	ds_write_b64 v20, v[128:129] offset:24320                  // 00000000A450: D89A5F00 00008014
	ds_write_b64 v20, v[130:131] offset:24832                  // 00000000A458: D89A6100 00008214
	ds_write_b64 v20, v[132:133] offset:25344                  // 00000000A460: D89A6300 00008414
	ds_write_b64 v20, v[134:135] offset:25856                  // 00000000A468: D89A6500 00008614
	s_waitcnt lgkmcnt(0)                                       // 00000000A470: BF8CC07F
	s_barrier                                                  // 00000000A474: BF8A0000
	ds_read_b64 v[136:137], v19 offset:24320                   // 00000000A478: D8EC5F00 88000013
	ds_read_b64 v[138:139], v19 offset:26368                   // 00000000A480: D8EC6700 8A000013
	ds_read_b64 v[140:141], v19 offset:28416                   // 00000000A488: D8EC6F00 8C000013
	ds_read_b64 v[142:143], v19 offset:30464                   // 00000000A490: D8EC7700 8E000013
	s_waitcnt lgkmcnt(0)                                       // 00000000A498: BF8CC07F
	s_barrier                                                  // 00000000A49C: BF8A0000
	buffer_atomic_add_f32 v136, v7, s[32:35], 0 offen          // 00000000A4A0: E1341000 80088807
	buffer_atomic_add_f32 v137, v8, s[32:35], 0 offen          // 00000000A4A8: E1341000 80088908
	buffer_atomic_add_f32 v138, v7, s[32:35], 0 offen offset:128// 00000000A4B0: E1341080 80088A07
	buffer_atomic_add_f32 v139, v8, s[32:35], 0 offen offset:128// 00000000A4B8: E1341080 80088B08
	buffer_atomic_add_f32 v140, v7, s[32:35], 0 offen offset:256// 00000000A4C0: E1341100 80088C07
	buffer_atomic_add_f32 v141, v8, s[32:35], 0 offen offset:256// 00000000A4C8: E1341100 80088D08
	buffer_atomic_add_f32 v142, v7, s[32:35], 0 offen offset:384// 00000000A4D0: E1341180 80088E07
	buffer_atomic_add_f32 v143, v8, s[32:35], 0 offen offset:384// 00000000A4D8: E1341180 80088F08
	v_lshrrev_b32_e32 v28, 4, v0                               // 00000000A4E0: 20380084
	v_mul_i32_i24_e32 v24, 2, v28                              // 00000000A4E4: 0C303882
	v_and_b32_e32 v28, 15, v0                                  // 00000000A4E8: 2638008F
	v_mul_i32_i24_e32 v29, 0x42, v28                           // 00000000A4EC: 0C3A38FF 00000042
	v_add_u32_e32 v24, v29, v24                                // 00000000A4F4: 6830311D
	s_mul_i32 s60, s46, 0x420                                  // 00000000A4F8: 923CFF2E 00000420
	v_add_u32_e32 v24, s60, v24                                // 00000000A500: 6830303C
	v_lshlrev_b32_e32 v24, 2, v24                              // 00000000A504: 24303082
	v_accvgpr_read_b32 v30, a160                               // 00000000A508: D3D8401E 180001A0
	v_accvgpr_read_b32 v31, a161                               // 00000000A510: D3D8401F 180001A1
	v_mul_f32_e32 v30, s47, v30                                // 00000000A518: 0A3C3C2F
	v_mul_f32_e32 v31, s47, v31                                // 00000000A51C: 0A3E3E2F
	v_cmp_u_f32_e64 s[74:75], v30, v30                         // 00000000A520: D048004A 00023D1E
	v_bfe_u32 v248, v30, 16, 1                                 // 00000000A528: D1C800F8 0205211E
	v_add3_u32 v248, v30, v248, v251                           // 00000000A530: D1FF00F8 07EFF11E
	v_cndmask_b32_e64 v28, v248, v250, s[74:75]                // 00000000A538: D100001C 012BF5F8
	v_lshrrev_b32_e32 v28, 16, v28                             // 00000000A540: 20383890
	v_cmp_u_f32_e64 s[74:75], v31, v31                         // 00000000A544: D048004A 00023F1F
	v_bfe_u32 v248, v31, 16, 1                                 // 00000000A54C: D1C800F8 0205211F
	v_add3_u32 v248, v31, v248, v251                           // 00000000A554: D1FF00F8 07EFF11F
	v_cndmask_b32_e64 v29, v248, v250, s[74:75]                // 00000000A55C: D100001D 012BF5F8
	v_and_or_b32 v48, v29, v249, v28                           // 00000000A564: D2010030 0473F31D
	v_accvgpr_read_b32 v30, a162                               // 00000000A56C: D3D8401E 180001A2
	v_accvgpr_read_b32 v31, a163                               // 00000000A574: D3D8401F 180001A3
	v_mul_f32_e32 v30, s47, v30                                // 00000000A57C: 0A3C3C2F
	v_mul_f32_e32 v31, s47, v31                                // 00000000A580: 0A3E3E2F
	v_cmp_u_f32_e64 s[74:75], v30, v30                         // 00000000A584: D048004A 00023D1E
	v_bfe_u32 v248, v30, 16, 1                                 // 00000000A58C: D1C800F8 0205211E
	v_add3_u32 v248, v30, v248, v251                           // 00000000A594: D1FF00F8 07EFF11E
	v_cndmask_b32_e64 v28, v248, v250, s[74:75]                // 00000000A59C: D100001C 012BF5F8
	v_lshrrev_b32_e32 v28, 16, v28                             // 00000000A5A4: 20383890
	v_cmp_u_f32_e64 s[74:75], v31, v31                         // 00000000A5A8: D048004A 00023F1F
	v_bfe_u32 v248, v31, 16, 1                                 // 00000000A5B0: D1C800F8 0205211F
	v_add3_u32 v248, v31, v248, v251                           // 00000000A5B8: D1FF00F8 07EFF11F
	v_cndmask_b32_e64 v29, v248, v250, s[74:75]                // 00000000A5C0: D100001D 012BF5F8
	v_and_or_b32 v49, v29, v249, v28                           // 00000000A5C8: D2010031 0473F31D
	v_accvgpr_read_b32 v30, a164                               // 00000000A5D0: D3D8401E 180001A4
	v_accvgpr_read_b32 v31, a165                               // 00000000A5D8: D3D8401F 180001A5
	v_mul_f32_e32 v30, s47, v30                                // 00000000A5E0: 0A3C3C2F
	v_mul_f32_e32 v31, s47, v31                                // 00000000A5E4: 0A3E3E2F
	v_cmp_u_f32_e64 s[74:75], v30, v30                         // 00000000A5E8: D048004A 00023D1E
	v_bfe_u32 v248, v30, 16, 1                                 // 00000000A5F0: D1C800F8 0205211E
	v_add3_u32 v248, v30, v248, v251                           // 00000000A5F8: D1FF00F8 07EFF11E
	v_cndmask_b32_e64 v28, v248, v250, s[74:75]                // 00000000A600: D100001C 012BF5F8
	v_lshrrev_b32_e32 v28, 16, v28                             // 00000000A608: 20383890
	v_cmp_u_f32_e64 s[74:75], v31, v31                         // 00000000A60C: D048004A 00023F1F
	v_bfe_u32 v248, v31, 16, 1                                 // 00000000A614: D1C800F8 0205211F
	v_add3_u32 v248, v31, v248, v251                           // 00000000A61C: D1FF00F8 07EFF11F
	v_cndmask_b32_e64 v29, v248, v250, s[74:75]                // 00000000A624: D100001D 012BF5F8
	v_and_or_b32 v50, v29, v249, v28                           // 00000000A62C: D2010032 0473F31D
	v_accvgpr_read_b32 v30, a166                               // 00000000A634: D3D8401E 180001A6
	v_accvgpr_read_b32 v31, a167                               // 00000000A63C: D3D8401F 180001A7
	v_mul_f32_e32 v30, s47, v30                                // 00000000A644: 0A3C3C2F
	v_mul_f32_e32 v31, s47, v31                                // 00000000A648: 0A3E3E2F
	v_cmp_u_f32_e64 s[74:75], v30, v30                         // 00000000A64C: D048004A 00023D1E
	v_bfe_u32 v248, v30, 16, 1                                 // 00000000A654: D1C800F8 0205211E
	v_add3_u32 v248, v30, v248, v251                           // 00000000A65C: D1FF00F8 07EFF11E
	v_cndmask_b32_e64 v28, v248, v250, s[74:75]                // 00000000A664: D100001C 012BF5F8
	v_lshrrev_b32_e32 v28, 16, v28                             // 00000000A66C: 20383890
	v_cmp_u_f32_e64 s[74:75], v31, v31                         // 00000000A670: D048004A 00023F1F
	v_bfe_u32 v248, v31, 16, 1                                 // 00000000A678: D1C800F8 0205211F
	v_add3_u32 v248, v31, v248, v251                           // 00000000A680: D1FF00F8 07EFF11F
	v_cndmask_b32_e64 v29, v248, v250, s[74:75]                // 00000000A688: D100001D 012BF5F8
	v_and_or_b32 v51, v29, v249, v28                           // 00000000A690: D2010033 0473F31D
	v_accvgpr_read_b32 v30, a168                               // 00000000A698: D3D8401E 180001A8
	v_accvgpr_read_b32 v31, a169                               // 00000000A6A0: D3D8401F 180001A9
	v_mul_f32_e32 v30, s47, v30                                // 00000000A6A8: 0A3C3C2F
	v_mul_f32_e32 v31, s47, v31                                // 00000000A6AC: 0A3E3E2F
	v_cmp_u_f32_e64 s[74:75], v30, v30                         // 00000000A6B0: D048004A 00023D1E
	v_bfe_u32 v248, v30, 16, 1                                 // 00000000A6B8: D1C800F8 0205211E
	v_add3_u32 v248, v30, v248, v251                           // 00000000A6C0: D1FF00F8 07EFF11E
	v_cndmask_b32_e64 v28, v248, v250, s[74:75]                // 00000000A6C8: D100001C 012BF5F8
	v_lshrrev_b32_e32 v28, 16, v28                             // 00000000A6D0: 20383890
	v_cmp_u_f32_e64 s[74:75], v31, v31                         // 00000000A6D4: D048004A 00023F1F
	v_bfe_u32 v248, v31, 16, 1                                 // 00000000A6DC: D1C800F8 0205211F
	v_add3_u32 v248, v31, v248, v251                           // 00000000A6E4: D1FF00F8 07EFF11F
	v_cndmask_b32_e64 v29, v248, v250, s[74:75]                // 00000000A6EC: D100001D 012BF5F8
	v_and_or_b32 v52, v29, v249, v28                           // 00000000A6F4: D2010034 0473F31D
	v_accvgpr_read_b32 v30, a170                               // 00000000A6FC: D3D8401E 180001AA
	v_accvgpr_read_b32 v31, a171                               // 00000000A704: D3D8401F 180001AB
	v_mul_f32_e32 v30, s47, v30                                // 00000000A70C: 0A3C3C2F
	v_mul_f32_e32 v31, s47, v31                                // 00000000A710: 0A3E3E2F
	v_cmp_u_f32_e64 s[74:75], v30, v30                         // 00000000A714: D048004A 00023D1E
	v_bfe_u32 v248, v30, 16, 1                                 // 00000000A71C: D1C800F8 0205211E
	v_add3_u32 v248, v30, v248, v251                           // 00000000A724: D1FF00F8 07EFF11E
	v_cndmask_b32_e64 v28, v248, v250, s[74:75]                // 00000000A72C: D100001C 012BF5F8
	v_lshrrev_b32_e32 v28, 16, v28                             // 00000000A734: 20383890
	v_cmp_u_f32_e64 s[74:75], v31, v31                         // 00000000A738: D048004A 00023F1F
	v_bfe_u32 v248, v31, 16, 1                                 // 00000000A740: D1C800F8 0205211F
	v_add3_u32 v248, v31, v248, v251                           // 00000000A748: D1FF00F8 07EFF11F
	v_cndmask_b32_e64 v29, v248, v250, s[74:75]                // 00000000A750: D100001D 012BF5F8
	v_and_or_b32 v53, v29, v249, v28                           // 00000000A758: D2010035 0473F31D
	v_accvgpr_read_b32 v30, a172                               // 00000000A760: D3D8401E 180001AC
	v_accvgpr_read_b32 v31, a173                               // 00000000A768: D3D8401F 180001AD
	v_mul_f32_e32 v30, s47, v30                                // 00000000A770: 0A3C3C2F
	v_mul_f32_e32 v31, s47, v31                                // 00000000A774: 0A3E3E2F
	v_cmp_u_f32_e64 s[74:75], v30, v30                         // 00000000A778: D048004A 00023D1E
	v_bfe_u32 v248, v30, 16, 1                                 // 00000000A780: D1C800F8 0205211E
	v_add3_u32 v248, v30, v248, v251                           // 00000000A788: D1FF00F8 07EFF11E
	v_cndmask_b32_e64 v28, v248, v250, s[74:75]                // 00000000A790: D100001C 012BF5F8
	v_lshrrev_b32_e32 v28, 16, v28                             // 00000000A798: 20383890
	v_cmp_u_f32_e64 s[74:75], v31, v31                         // 00000000A79C: D048004A 00023F1F
	v_bfe_u32 v248, v31, 16, 1                                 // 00000000A7A4: D1C800F8 0205211F
	v_add3_u32 v248, v31, v248, v251                           // 00000000A7AC: D1FF00F8 07EFF11F
	v_cndmask_b32_e64 v29, v248, v250, s[74:75]                // 00000000A7B4: D100001D 012BF5F8
	v_and_or_b32 v54, v29, v249, v28                           // 00000000A7BC: D2010036 0473F31D
	v_accvgpr_read_b32 v30, a174                               // 00000000A7C4: D3D8401E 180001AE
	v_accvgpr_read_b32 v31, a175                               // 00000000A7CC: D3D8401F 180001AF
	v_mul_f32_e32 v30, s47, v30                                // 00000000A7D4: 0A3C3C2F
	v_mul_f32_e32 v31, s47, v31                                // 00000000A7D8: 0A3E3E2F
	v_cmp_u_f32_e64 s[74:75], v30, v30                         // 00000000A7DC: D048004A 00023D1E
	v_bfe_u32 v248, v30, 16, 1                                 // 00000000A7E4: D1C800F8 0205211E
	v_add3_u32 v248, v30, v248, v251                           // 00000000A7EC: D1FF00F8 07EFF11E
	v_cndmask_b32_e64 v28, v248, v250, s[74:75]                // 00000000A7F4: D100001C 012BF5F8
	v_lshrrev_b32_e32 v28, 16, v28                             // 00000000A7FC: 20383890
	v_cmp_u_f32_e64 s[74:75], v31, v31                         // 00000000A800: D048004A 00023F1F
	v_bfe_u32 v248, v31, 16, 1                                 // 00000000A808: D1C800F8 0205211F
	v_add3_u32 v248, v31, v248, v251                           // 00000000A810: D1FF00F8 07EFF11F
	v_cndmask_b32_e64 v29, v248, v250, s[74:75]                // 00000000A818: D100001D 012BF5F8
	v_and_or_b32 v55, v29, v249, v28                           // 00000000A820: D2010037 0473F31D
	v_accvgpr_read_b32 v30, a176                               // 00000000A828: D3D8401E 180001B0
	v_accvgpr_read_b32 v31, a177                               // 00000000A830: D3D8401F 180001B1
	v_mul_f32_e32 v30, s47, v30                                // 00000000A838: 0A3C3C2F
	v_mul_f32_e32 v31, s47, v31                                // 00000000A83C: 0A3E3E2F
	v_cmp_u_f32_e64 s[74:75], v30, v30                         // 00000000A840: D048004A 00023D1E
	v_bfe_u32 v248, v30, 16, 1                                 // 00000000A848: D1C800F8 0205211E
	v_add3_u32 v248, v30, v248, v251                           // 00000000A850: D1FF00F8 07EFF11E
	v_cndmask_b32_e64 v28, v248, v250, s[74:75]                // 00000000A858: D100001C 012BF5F8
	v_lshrrev_b32_e32 v28, 16, v28                             // 00000000A860: 20383890
	v_cmp_u_f32_e64 s[74:75], v31, v31                         // 00000000A864: D048004A 00023F1F
	v_bfe_u32 v248, v31, 16, 1                                 // 00000000A86C: D1C800F8 0205211F
	v_add3_u32 v248, v31, v248, v251                           // 00000000A874: D1FF00F8 07EFF11F
	v_cndmask_b32_e64 v29, v248, v250, s[74:75]                // 00000000A87C: D100001D 012BF5F8
	v_and_or_b32 v56, v29, v249, v28                           // 00000000A884: D2010038 0473F31D
	v_accvgpr_read_b32 v30, a178                               // 00000000A88C: D3D8401E 180001B2
	v_accvgpr_read_b32 v31, a179                               // 00000000A894: D3D8401F 180001B3
	v_mul_f32_e32 v30, s47, v30                                // 00000000A89C: 0A3C3C2F
	v_mul_f32_e32 v31, s47, v31                                // 00000000A8A0: 0A3E3E2F
	v_cmp_u_f32_e64 s[74:75], v30, v30                         // 00000000A8A4: D048004A 00023D1E
	v_bfe_u32 v248, v30, 16, 1                                 // 00000000A8AC: D1C800F8 0205211E
	v_add3_u32 v248, v30, v248, v251                           // 00000000A8B4: D1FF00F8 07EFF11E
	v_cndmask_b32_e64 v28, v248, v250, s[74:75]                // 00000000A8BC: D100001C 012BF5F8
	v_lshrrev_b32_e32 v28, 16, v28                             // 00000000A8C4: 20383890
	v_cmp_u_f32_e64 s[74:75], v31, v31                         // 00000000A8C8: D048004A 00023F1F
	v_bfe_u32 v248, v31, 16, 1                                 // 00000000A8D0: D1C800F8 0205211F
	v_add3_u32 v248, v31, v248, v251                           // 00000000A8D8: D1FF00F8 07EFF11F
	v_cndmask_b32_e64 v29, v248, v250, s[74:75]                // 00000000A8E0: D100001D 012BF5F8
	v_and_or_b32 v57, v29, v249, v28                           // 00000000A8E8: D2010039 0473F31D
	v_accvgpr_read_b32 v30, a180                               // 00000000A8F0: D3D8401E 180001B4
	v_accvgpr_read_b32 v31, a181                               // 00000000A8F8: D3D8401F 180001B5
	v_mul_f32_e32 v30, s47, v30                                // 00000000A900: 0A3C3C2F
	v_mul_f32_e32 v31, s47, v31                                // 00000000A904: 0A3E3E2F
	v_cmp_u_f32_e64 s[74:75], v30, v30                         // 00000000A908: D048004A 00023D1E
	v_bfe_u32 v248, v30, 16, 1                                 // 00000000A910: D1C800F8 0205211E
	v_add3_u32 v248, v30, v248, v251                           // 00000000A918: D1FF00F8 07EFF11E
	v_cndmask_b32_e64 v28, v248, v250, s[74:75]                // 00000000A920: D100001C 012BF5F8
	v_lshrrev_b32_e32 v28, 16, v28                             // 00000000A928: 20383890
	v_cmp_u_f32_e64 s[74:75], v31, v31                         // 00000000A92C: D048004A 00023F1F
	v_bfe_u32 v248, v31, 16, 1                                 // 00000000A934: D1C800F8 0205211F
	v_add3_u32 v248, v31, v248, v251                           // 00000000A93C: D1FF00F8 07EFF11F
	v_cndmask_b32_e64 v29, v248, v250, s[74:75]                // 00000000A944: D100001D 012BF5F8
	v_and_or_b32 v58, v29, v249, v28                           // 00000000A94C: D201003A 0473F31D
	v_accvgpr_read_b32 v30, a182                               // 00000000A954: D3D8401E 180001B6
	v_accvgpr_read_b32 v31, a183                               // 00000000A95C: D3D8401F 180001B7
	v_mul_f32_e32 v30, s47, v30                                // 00000000A964: 0A3C3C2F
	v_mul_f32_e32 v31, s47, v31                                // 00000000A968: 0A3E3E2F
	v_cmp_u_f32_e64 s[74:75], v30, v30                         // 00000000A96C: D048004A 00023D1E
	v_bfe_u32 v248, v30, 16, 1                                 // 00000000A974: D1C800F8 0205211E
	v_add3_u32 v248, v30, v248, v251                           // 00000000A97C: D1FF00F8 07EFF11E
	v_cndmask_b32_e64 v28, v248, v250, s[74:75]                // 00000000A984: D100001C 012BF5F8
	v_lshrrev_b32_e32 v28, 16, v28                             // 00000000A98C: 20383890
	v_cmp_u_f32_e64 s[74:75], v31, v31                         // 00000000A990: D048004A 00023F1F
	v_bfe_u32 v248, v31, 16, 1                                 // 00000000A998: D1C800F8 0205211F
	v_add3_u32 v248, v31, v248, v251                           // 00000000A9A0: D1FF00F8 07EFF11F
	v_cndmask_b32_e64 v29, v248, v250, s[74:75]                // 00000000A9A8: D100001D 012BF5F8
	v_and_or_b32 v59, v29, v249, v28                           // 00000000A9B0: D201003B 0473F31D
	v_accvgpr_read_b32 v30, a184                               // 00000000A9B8: D3D8401E 180001B8
	v_accvgpr_read_b32 v31, a185                               // 00000000A9C0: D3D8401F 180001B9
	v_mul_f32_e32 v30, s47, v30                                // 00000000A9C8: 0A3C3C2F
	v_mul_f32_e32 v31, s47, v31                                // 00000000A9CC: 0A3E3E2F
	v_cmp_u_f32_e64 s[74:75], v30, v30                         // 00000000A9D0: D048004A 00023D1E
	v_bfe_u32 v248, v30, 16, 1                                 // 00000000A9D8: D1C800F8 0205211E
	v_add3_u32 v248, v30, v248, v251                           // 00000000A9E0: D1FF00F8 07EFF11E
	v_cndmask_b32_e64 v28, v248, v250, s[74:75]                // 00000000A9E8: D100001C 012BF5F8
	v_lshrrev_b32_e32 v28, 16, v28                             // 00000000A9F0: 20383890
	v_cmp_u_f32_e64 s[74:75], v31, v31                         // 00000000A9F4: D048004A 00023F1F
	v_bfe_u32 v248, v31, 16, 1                                 // 00000000A9FC: D1C800F8 0205211F
	v_add3_u32 v248, v31, v248, v251                           // 00000000AA04: D1FF00F8 07EFF11F
	v_cndmask_b32_e64 v29, v248, v250, s[74:75]                // 00000000AA0C: D100001D 012BF5F8
	v_and_or_b32 v60, v29, v249, v28                           // 00000000AA14: D201003C 0473F31D
	v_accvgpr_read_b32 v30, a186                               // 00000000AA1C: D3D8401E 180001BA
	v_accvgpr_read_b32 v31, a187                               // 00000000AA24: D3D8401F 180001BB
	v_mul_f32_e32 v30, s47, v30                                // 00000000AA2C: 0A3C3C2F
	v_mul_f32_e32 v31, s47, v31                                // 00000000AA30: 0A3E3E2F
	v_cmp_u_f32_e64 s[74:75], v30, v30                         // 00000000AA34: D048004A 00023D1E
	v_bfe_u32 v248, v30, 16, 1                                 // 00000000AA3C: D1C800F8 0205211E
	v_add3_u32 v248, v30, v248, v251                           // 00000000AA44: D1FF00F8 07EFF11E
	v_cndmask_b32_e64 v28, v248, v250, s[74:75]                // 00000000AA4C: D100001C 012BF5F8
	v_lshrrev_b32_e32 v28, 16, v28                             // 00000000AA54: 20383890
	v_cmp_u_f32_e64 s[74:75], v31, v31                         // 00000000AA58: D048004A 00023F1F
	v_bfe_u32 v248, v31, 16, 1                                 // 00000000AA60: D1C800F8 0205211F
	v_add3_u32 v248, v31, v248, v251                           // 00000000AA68: D1FF00F8 07EFF11F
	v_cndmask_b32_e64 v29, v248, v250, s[74:75]                // 00000000AA70: D100001D 012BF5F8
	v_and_or_b32 v61, v29, v249, v28                           // 00000000AA78: D201003D 0473F31D
	v_accvgpr_read_b32 v30, a188                               // 00000000AA80: D3D8401E 180001BC
	v_accvgpr_read_b32 v31, a189                               // 00000000AA88: D3D8401F 180001BD
	v_mul_f32_e32 v30, s47, v30                                // 00000000AA90: 0A3C3C2F
	v_mul_f32_e32 v31, s47, v31                                // 00000000AA94: 0A3E3E2F
	v_cmp_u_f32_e64 s[74:75], v30, v30                         // 00000000AA98: D048004A 00023D1E
	v_bfe_u32 v248, v30, 16, 1                                 // 00000000AAA0: D1C800F8 0205211E
	v_add3_u32 v248, v30, v248, v251                           // 00000000AAA8: D1FF00F8 07EFF11E
	v_cndmask_b32_e64 v28, v248, v250, s[74:75]                // 00000000AAB0: D100001C 012BF5F8
	v_lshrrev_b32_e32 v28, 16, v28                             // 00000000AAB8: 20383890
	v_cmp_u_f32_e64 s[74:75], v31, v31                         // 00000000AABC: D048004A 00023F1F
	v_bfe_u32 v248, v31, 16, 1                                 // 00000000AAC4: D1C800F8 0205211F
	v_add3_u32 v248, v31, v248, v251                           // 00000000AACC: D1FF00F8 07EFF11F
	v_cndmask_b32_e64 v29, v248, v250, s[74:75]                // 00000000AAD4: D100001D 012BF5F8
	v_and_or_b32 v62, v29, v249, v28                           // 00000000AADC: D201003E 0473F31D
	v_accvgpr_read_b32 v30, a190                               // 00000000AAE4: D3D8401E 180001BE
	v_accvgpr_read_b32 v31, a191                               // 00000000AAEC: D3D8401F 180001BF
	v_mul_f32_e32 v30, s47, v30                                // 00000000AAF4: 0A3C3C2F
	v_mul_f32_e32 v31, s47, v31                                // 00000000AAF8: 0A3E3E2F
	v_cmp_u_f32_e64 s[74:75], v30, v30                         // 00000000AAFC: D048004A 00023D1E
	v_bfe_u32 v248, v30, 16, 1                                 // 00000000AB04: D1C800F8 0205211E
	v_add3_u32 v248, v30, v248, v251                           // 00000000AB0C: D1FF00F8 07EFF11E
	v_cndmask_b32_e64 v28, v248, v250, s[74:75]                // 00000000AB14: D100001C 012BF5F8
	v_lshrrev_b32_e32 v28, 16, v28                             // 00000000AB1C: 20383890
	v_cmp_u_f32_e64 s[74:75], v31, v31                         // 00000000AB20: D048004A 00023F1F
	v_bfe_u32 v248, v31, 16, 1                                 // 00000000AB28: D1C800F8 0205211F
	v_add3_u32 v248, v31, v248, v251                           // 00000000AB30: D1FF00F8 07EFF11F
	v_cndmask_b32_e64 v29, v248, v250, s[74:75]                // 00000000AB38: D100001D 012BF5F8
	v_and_or_b32 v63, v29, v249, v28                           // 00000000AB40: D201003F 0473F31D
	ds_write_b64 v25, v[48:49]                                 // 00000000AB48: D89A0000 00003019
	ds_write_b64 v25, v[50:51] offset:528                      // 00000000AB50: D89A0210 00003219
	ds_write_b64 v25, v[52:53] offset:1056                     // 00000000AB58: D89A0420 00003419
	ds_write_b64 v25, v[54:55] offset:1584                     // 00000000AB60: D89A0630 00003619
	ds_write_b64 v25, v[56:57] offset:2112                     // 00000000AB68: D89A0840 00003819
	ds_write_b64 v25, v[58:59] offset:2640                     // 00000000AB70: D89A0A50 00003A19
	ds_write_b64 v25, v[60:61] offset:3168                     // 00000000AB78: D89A0C60 00003C19
	ds_write_b64 v25, v[62:63] offset:3696                     // 00000000AB80: D89A0E70 00003E19
	s_waitcnt lgkmcnt(0)                                       // 00000000AB88: BF8CC07F
	s_barrier                                                  // 00000000AB8C: BF8A0000
	ds_read_b64 v[48:49], v24                                  // 00000000AB90: D8EC0000 30000018
	ds_read_b64 v[50:51], v24 offset:128                       // 00000000AB98: D8EC0080 32000018
	ds_read_b64 v[52:53], v24 offset:32                        // 00000000ABA0: D8EC0020 34000018
	ds_read_b64 v[54:55], v24 offset:160                       // 00000000ABA8: D8EC00A0 36000018
	ds_read_b64 v[56:57], v24 offset:64                        // 00000000ABB0: D8EC0040 38000018
	ds_read_b64 v[58:59], v24 offset:192                       // 00000000ABB8: D8EC00C0 3A000018
	ds_read_b64 v[60:61], v24 offset:96                        // 00000000ABC0: D8EC0060 3C000018
	ds_read_b64 v[62:63], v24 offset:224                       // 00000000ABC8: D8EC00E0 3E000018
	s_waitcnt lgkmcnt(0)                                       // 00000000ABD0: BF8CC07F
	s_mov_b32 s70, s52                                         // 00000000ABD4: BEC60034
	s_mov_b64 exec, s[90:91]                                   // 00000000ABD8: BEFE015A
	buffer_store_dwordx4 v[48:51], v5, s[36:39], 0 idxen       // 00000000ABDC: E07C2000 80093005
	s_mov_b64 exec, s[86:87]                                   // 00000000ABE4: BEFE0156
	v_add_u32_e32 v5, s70, v5                                  // 00000000ABE8: 680A0A46
	s_mov_b64 exec, s[90:91]                                   // 00000000ABEC: BEFE015A
	buffer_store_dwordx4 v[52:55], v5, s[36:39], 0 idxen       // 00000000ABF0: E07C2000 80093405
	s_mov_b64 exec, s[86:87]                                   // 00000000ABF8: BEFE0156
	v_add_u32_e32 v5, s70, v5                                  // 00000000ABFC: 680A0A46
	s_mov_b64 exec, s[90:91]                                   // 00000000AC00: BEFE015A
	buffer_store_dwordx4 v[56:59], v5, s[36:39], 0 idxen       // 00000000AC04: E07C2000 80093805
	s_mov_b64 exec, s[86:87]                                   // 00000000AC0C: BEFE0156
	v_add_u32_e32 v5, s70, v5                                  // 00000000AC10: 680A0A46
	s_mov_b64 exec, s[90:91]                                   // 00000000AC14: BEFE015A
	buffer_store_dwordx4 v[60:63], v5, s[36:39], 0 idxen       // 00000000AC18: E07C2000 80093C05
	s_mov_b64 exec, s[86:87]                                   // 00000000AC20: BEFE0156
	v_add_u32_e32 v5, s70, v5                                  // 00000000AC24: 680A0A46
	s_mul_i32 s60, 12, s70                                     // 00000000AC28: 923C468C
	v_add_u32_e32 v5, s60, v5                                  // 00000000AC2C: 680A0A3C
	s_barrier                                                  // 00000000AC30: BF8A0000
	s_cmp_ge_i32 1, s73                                        // 00000000AC34: BF034981
	s_cbranch_scc1 label_1F41                                  // 00000000AC38: BF85039A
	v_accvgpr_read_b32 v30, a192                               // 00000000AC3C: D3D8401E 180001C0
	v_accvgpr_read_b32 v31, a193                               // 00000000AC44: D3D8401F 180001C1
	v_mul_f32_e32 v30, s47, v30                                // 00000000AC4C: 0A3C3C2F
	v_mul_f32_e32 v31, s47, v31                                // 00000000AC50: 0A3E3E2F
	v_cmp_u_f32_e64 s[74:75], v30, v30                         // 00000000AC54: D048004A 00023D1E
	v_bfe_u32 v248, v30, 16, 1                                 // 00000000AC5C: D1C800F8 0205211E
	v_add3_u32 v248, v30, v248, v251                           // 00000000AC64: D1FF00F8 07EFF11E
	v_cndmask_b32_e64 v28, v248, v250, s[74:75]                // 00000000AC6C: D100001C 012BF5F8
	v_lshrrev_b32_e32 v28, 16, v28                             // 00000000AC74: 20383890
	v_cmp_u_f32_e64 s[74:75], v31, v31                         // 00000000AC78: D048004A 00023F1F
	v_bfe_u32 v248, v31, 16, 1                                 // 00000000AC80: D1C800F8 0205211F
	v_add3_u32 v248, v31, v248, v251                           // 00000000AC88: D1FF00F8 07EFF11F
	v_cndmask_b32_e64 v29, v248, v250, s[74:75]                // 00000000AC90: D100001D 012BF5F8
	v_and_or_b32 v64, v29, v249, v28                           // 00000000AC98: D2010040 0473F31D
	v_accvgpr_read_b32 v30, a194                               // 00000000ACA0: D3D8401E 180001C2
	v_accvgpr_read_b32 v31, a195                               // 00000000ACA8: D3D8401F 180001C3
	v_mul_f32_e32 v30, s47, v30                                // 00000000ACB0: 0A3C3C2F
	v_mul_f32_e32 v31, s47, v31                                // 00000000ACB4: 0A3E3E2F
	v_cmp_u_f32_e64 s[74:75], v30, v30                         // 00000000ACB8: D048004A 00023D1E
	v_bfe_u32 v248, v30, 16, 1                                 // 00000000ACC0: D1C800F8 0205211E
	v_add3_u32 v248, v30, v248, v251                           // 00000000ACC8: D1FF00F8 07EFF11E
	v_cndmask_b32_e64 v28, v248, v250, s[74:75]                // 00000000ACD0: D100001C 012BF5F8
	v_lshrrev_b32_e32 v28, 16, v28                             // 00000000ACD8: 20383890
	v_cmp_u_f32_e64 s[74:75], v31, v31                         // 00000000ACDC: D048004A 00023F1F
	v_bfe_u32 v248, v31, 16, 1                                 // 00000000ACE4: D1C800F8 0205211F
	v_add3_u32 v248, v31, v248, v251                           // 00000000ACEC: D1FF00F8 07EFF11F
	v_cndmask_b32_e64 v29, v248, v250, s[74:75]                // 00000000ACF4: D100001D 012BF5F8
	v_and_or_b32 v65, v29, v249, v28                           // 00000000ACFC: D2010041 0473F31D
	v_accvgpr_read_b32 v30, a196                               // 00000000AD04: D3D8401E 180001C4
	v_accvgpr_read_b32 v31, a197                               // 00000000AD0C: D3D8401F 180001C5
	v_mul_f32_e32 v30, s47, v30                                // 00000000AD14: 0A3C3C2F
	v_mul_f32_e32 v31, s47, v31                                // 00000000AD18: 0A3E3E2F
	v_cmp_u_f32_e64 s[74:75], v30, v30                         // 00000000AD1C: D048004A 00023D1E
	v_bfe_u32 v248, v30, 16, 1                                 // 00000000AD24: D1C800F8 0205211E
	v_add3_u32 v248, v30, v248, v251                           // 00000000AD2C: D1FF00F8 07EFF11E
	v_cndmask_b32_e64 v28, v248, v250, s[74:75]                // 00000000AD34: D100001C 012BF5F8
	v_lshrrev_b32_e32 v28, 16, v28                             // 00000000AD3C: 20383890
	v_cmp_u_f32_e64 s[74:75], v31, v31                         // 00000000AD40: D048004A 00023F1F
	v_bfe_u32 v248, v31, 16, 1                                 // 00000000AD48: D1C800F8 0205211F
	v_add3_u32 v248, v31, v248, v251                           // 00000000AD50: D1FF00F8 07EFF11F
	v_cndmask_b32_e64 v29, v248, v250, s[74:75]                // 00000000AD58: D100001D 012BF5F8
	v_and_or_b32 v66, v29, v249, v28                           // 00000000AD60: D2010042 0473F31D
	v_accvgpr_read_b32 v30, a198                               // 00000000AD68: D3D8401E 180001C6
	v_accvgpr_read_b32 v31, a199                               // 00000000AD70: D3D8401F 180001C7
	v_mul_f32_e32 v30, s47, v30                                // 00000000AD78: 0A3C3C2F
	v_mul_f32_e32 v31, s47, v31                                // 00000000AD7C: 0A3E3E2F
	v_cmp_u_f32_e64 s[74:75], v30, v30                         // 00000000AD80: D048004A 00023D1E
	v_bfe_u32 v248, v30, 16, 1                                 // 00000000AD88: D1C800F8 0205211E
	v_add3_u32 v248, v30, v248, v251                           // 00000000AD90: D1FF00F8 07EFF11E
	v_cndmask_b32_e64 v28, v248, v250, s[74:75]                // 00000000AD98: D100001C 012BF5F8
	v_lshrrev_b32_e32 v28, 16, v28                             // 00000000ADA0: 20383890
	v_cmp_u_f32_e64 s[74:75], v31, v31                         // 00000000ADA4: D048004A 00023F1F
	v_bfe_u32 v248, v31, 16, 1                                 // 00000000ADAC: D1C800F8 0205211F
	v_add3_u32 v248, v31, v248, v251                           // 00000000ADB4: D1FF00F8 07EFF11F
	v_cndmask_b32_e64 v29, v248, v250, s[74:75]                // 00000000ADBC: D100001D 012BF5F8
	v_and_or_b32 v67, v29, v249, v28                           // 00000000ADC4: D2010043 0473F31D
	v_accvgpr_read_b32 v30, a200                               // 00000000ADCC: D3D8401E 180001C8
	v_accvgpr_read_b32 v31, a201                               // 00000000ADD4: D3D8401F 180001C9
	v_mul_f32_e32 v30, s47, v30                                // 00000000ADDC: 0A3C3C2F
	v_mul_f32_e32 v31, s47, v31                                // 00000000ADE0: 0A3E3E2F
	v_cmp_u_f32_e64 s[74:75], v30, v30                         // 00000000ADE4: D048004A 00023D1E
	v_bfe_u32 v248, v30, 16, 1                                 // 00000000ADEC: D1C800F8 0205211E
	v_add3_u32 v248, v30, v248, v251                           // 00000000ADF4: D1FF00F8 07EFF11E
	v_cndmask_b32_e64 v28, v248, v250, s[74:75]                // 00000000ADFC: D100001C 012BF5F8
	v_lshrrev_b32_e32 v28, 16, v28                             // 00000000AE04: 20383890
	v_cmp_u_f32_e64 s[74:75], v31, v31                         // 00000000AE08: D048004A 00023F1F
	v_bfe_u32 v248, v31, 16, 1                                 // 00000000AE10: D1C800F8 0205211F
	v_add3_u32 v248, v31, v248, v251                           // 00000000AE18: D1FF00F8 07EFF11F
	v_cndmask_b32_e64 v29, v248, v250, s[74:75]                // 00000000AE20: D100001D 012BF5F8
	v_and_or_b32 v68, v29, v249, v28                           // 00000000AE28: D2010044 0473F31D
	v_accvgpr_read_b32 v30, a202                               // 00000000AE30: D3D8401E 180001CA
	v_accvgpr_read_b32 v31, a203                               // 00000000AE38: D3D8401F 180001CB
	v_mul_f32_e32 v30, s47, v30                                // 00000000AE40: 0A3C3C2F
	v_mul_f32_e32 v31, s47, v31                                // 00000000AE44: 0A3E3E2F
	v_cmp_u_f32_e64 s[74:75], v30, v30                         // 00000000AE48: D048004A 00023D1E
	v_bfe_u32 v248, v30, 16, 1                                 // 00000000AE50: D1C800F8 0205211E
	v_add3_u32 v248, v30, v248, v251                           // 00000000AE58: D1FF00F8 07EFF11E
	v_cndmask_b32_e64 v28, v248, v250, s[74:75]                // 00000000AE60: D100001C 012BF5F8
	v_lshrrev_b32_e32 v28, 16, v28                             // 00000000AE68: 20383890
	v_cmp_u_f32_e64 s[74:75], v31, v31                         // 00000000AE6C: D048004A 00023F1F
	v_bfe_u32 v248, v31, 16, 1                                 // 00000000AE74: D1C800F8 0205211F
	v_add3_u32 v248, v31, v248, v251                           // 00000000AE7C: D1FF00F8 07EFF11F
	v_cndmask_b32_e64 v29, v248, v250, s[74:75]                // 00000000AE84: D100001D 012BF5F8
	v_and_or_b32 v69, v29, v249, v28                           // 00000000AE8C: D2010045 0473F31D
	v_accvgpr_read_b32 v30, a204                               // 00000000AE94: D3D8401E 180001CC
	v_accvgpr_read_b32 v31, a205                               // 00000000AE9C: D3D8401F 180001CD
	v_mul_f32_e32 v30, s47, v30                                // 00000000AEA4: 0A3C3C2F
	v_mul_f32_e32 v31, s47, v31                                // 00000000AEA8: 0A3E3E2F
	v_cmp_u_f32_e64 s[74:75], v30, v30                         // 00000000AEAC: D048004A 00023D1E
	v_bfe_u32 v248, v30, 16, 1                                 // 00000000AEB4: D1C800F8 0205211E
	v_add3_u32 v248, v30, v248, v251                           // 00000000AEBC: D1FF00F8 07EFF11E
	v_cndmask_b32_e64 v28, v248, v250, s[74:75]                // 00000000AEC4: D100001C 012BF5F8
	v_lshrrev_b32_e32 v28, 16, v28                             // 00000000AECC: 20383890
	v_cmp_u_f32_e64 s[74:75], v31, v31                         // 00000000AED0: D048004A 00023F1F
	v_bfe_u32 v248, v31, 16, 1                                 // 00000000AED8: D1C800F8 0205211F
	v_add3_u32 v248, v31, v248, v251                           // 00000000AEE0: D1FF00F8 07EFF11F
	v_cndmask_b32_e64 v29, v248, v250, s[74:75]                // 00000000AEE8: D100001D 012BF5F8
	v_and_or_b32 v70, v29, v249, v28                           // 00000000AEF0: D2010046 0473F31D
	v_accvgpr_read_b32 v30, a206                               // 00000000AEF8: D3D8401E 180001CE
	v_accvgpr_read_b32 v31, a207                               // 00000000AF00: D3D8401F 180001CF
	v_mul_f32_e32 v30, s47, v30                                // 00000000AF08: 0A3C3C2F
	v_mul_f32_e32 v31, s47, v31                                // 00000000AF0C: 0A3E3E2F
	v_cmp_u_f32_e64 s[74:75], v30, v30                         // 00000000AF10: D048004A 00023D1E
	v_bfe_u32 v248, v30, 16, 1                                 // 00000000AF18: D1C800F8 0205211E
	v_add3_u32 v248, v30, v248, v251                           // 00000000AF20: D1FF00F8 07EFF11E
	v_cndmask_b32_e64 v28, v248, v250, s[74:75]                // 00000000AF28: D100001C 012BF5F8
	v_lshrrev_b32_e32 v28, 16, v28                             // 00000000AF30: 20383890
	v_cmp_u_f32_e64 s[74:75], v31, v31                         // 00000000AF34: D048004A 00023F1F
	v_bfe_u32 v248, v31, 16, 1                                 // 00000000AF3C: D1C800F8 0205211F
	v_add3_u32 v248, v31, v248, v251                           // 00000000AF44: D1FF00F8 07EFF11F
	v_cndmask_b32_e64 v29, v248, v250, s[74:75]                // 00000000AF4C: D100001D 012BF5F8
	v_and_or_b32 v71, v29, v249, v28                           // 00000000AF54: D2010047 0473F31D
	v_accvgpr_read_b32 v30, a208                               // 00000000AF5C: D3D8401E 180001D0
	v_accvgpr_read_b32 v31, a209                               // 00000000AF64: D3D8401F 180001D1
	v_mul_f32_e32 v30, s47, v30                                // 00000000AF6C: 0A3C3C2F
	v_mul_f32_e32 v31, s47, v31                                // 00000000AF70: 0A3E3E2F
	v_cmp_u_f32_e64 s[74:75], v30, v30                         // 00000000AF74: D048004A 00023D1E
	v_bfe_u32 v248, v30, 16, 1                                 // 00000000AF7C: D1C800F8 0205211E
	v_add3_u32 v248, v30, v248, v251                           // 00000000AF84: D1FF00F8 07EFF11E
	v_cndmask_b32_e64 v28, v248, v250, s[74:75]                // 00000000AF8C: D100001C 012BF5F8
	v_lshrrev_b32_e32 v28, 16, v28                             // 00000000AF94: 20383890
	v_cmp_u_f32_e64 s[74:75], v31, v31                         // 00000000AF98: D048004A 00023F1F
	v_bfe_u32 v248, v31, 16, 1                                 // 00000000AFA0: D1C800F8 0205211F
	v_add3_u32 v248, v31, v248, v251                           // 00000000AFA8: D1FF00F8 07EFF11F
	v_cndmask_b32_e64 v29, v248, v250, s[74:75]                // 00000000AFB0: D100001D 012BF5F8
	v_and_or_b32 v72, v29, v249, v28                           // 00000000AFB8: D2010048 0473F31D
	v_accvgpr_read_b32 v30, a210                               // 00000000AFC0: D3D8401E 180001D2
	v_accvgpr_read_b32 v31, a211                               // 00000000AFC8: D3D8401F 180001D3
	v_mul_f32_e32 v30, s47, v30                                // 00000000AFD0: 0A3C3C2F
	v_mul_f32_e32 v31, s47, v31                                // 00000000AFD4: 0A3E3E2F
	v_cmp_u_f32_e64 s[74:75], v30, v30                         // 00000000AFD8: D048004A 00023D1E
	v_bfe_u32 v248, v30, 16, 1                                 // 00000000AFE0: D1C800F8 0205211E
	v_add3_u32 v248, v30, v248, v251                           // 00000000AFE8: D1FF00F8 07EFF11E
	v_cndmask_b32_e64 v28, v248, v250, s[74:75]                // 00000000AFF0: D100001C 012BF5F8
	v_lshrrev_b32_e32 v28, 16, v28                             // 00000000AFF8: 20383890
	v_cmp_u_f32_e64 s[74:75], v31, v31                         // 00000000AFFC: D048004A 00023F1F
	v_bfe_u32 v248, v31, 16, 1                                 // 00000000B004: D1C800F8 0205211F
	v_add3_u32 v248, v31, v248, v251                           // 00000000B00C: D1FF00F8 07EFF11F
	v_cndmask_b32_e64 v29, v248, v250, s[74:75]                // 00000000B014: D100001D 012BF5F8
	v_and_or_b32 v73, v29, v249, v28                           // 00000000B01C: D2010049 0473F31D
	v_accvgpr_read_b32 v30, a212                               // 00000000B024: D3D8401E 180001D4
	v_accvgpr_read_b32 v31, a213                               // 00000000B02C: D3D8401F 180001D5
	v_mul_f32_e32 v30, s47, v30                                // 00000000B034: 0A3C3C2F
	v_mul_f32_e32 v31, s47, v31                                // 00000000B038: 0A3E3E2F
	v_cmp_u_f32_e64 s[74:75], v30, v30                         // 00000000B03C: D048004A 00023D1E
	v_bfe_u32 v248, v30, 16, 1                                 // 00000000B044: D1C800F8 0205211E
	v_add3_u32 v248, v30, v248, v251                           // 00000000B04C: D1FF00F8 07EFF11E
	v_cndmask_b32_e64 v28, v248, v250, s[74:75]                // 00000000B054: D100001C 012BF5F8
	v_lshrrev_b32_e32 v28, 16, v28                             // 00000000B05C: 20383890
	v_cmp_u_f32_e64 s[74:75], v31, v31                         // 00000000B060: D048004A 00023F1F
	v_bfe_u32 v248, v31, 16, 1                                 // 00000000B068: D1C800F8 0205211F
	v_add3_u32 v248, v31, v248, v251                           // 00000000B070: D1FF00F8 07EFF11F
	v_cndmask_b32_e64 v29, v248, v250, s[74:75]                // 00000000B078: D100001D 012BF5F8
	v_and_or_b32 v74, v29, v249, v28                           // 00000000B080: D201004A 0473F31D
	v_accvgpr_read_b32 v30, a214                               // 00000000B088: D3D8401E 180001D6
	v_accvgpr_read_b32 v31, a215                               // 00000000B090: D3D8401F 180001D7
	v_mul_f32_e32 v30, s47, v30                                // 00000000B098: 0A3C3C2F
	v_mul_f32_e32 v31, s47, v31                                // 00000000B09C: 0A3E3E2F
	v_cmp_u_f32_e64 s[74:75], v30, v30                         // 00000000B0A0: D048004A 00023D1E
	v_bfe_u32 v248, v30, 16, 1                                 // 00000000B0A8: D1C800F8 0205211E
	v_add3_u32 v248, v30, v248, v251                           // 00000000B0B0: D1FF00F8 07EFF11E
	v_cndmask_b32_e64 v28, v248, v250, s[74:75]                // 00000000B0B8: D100001C 012BF5F8
	v_lshrrev_b32_e32 v28, 16, v28                             // 00000000B0C0: 20383890
	v_cmp_u_f32_e64 s[74:75], v31, v31                         // 00000000B0C4: D048004A 00023F1F
	v_bfe_u32 v248, v31, 16, 1                                 // 00000000B0CC: D1C800F8 0205211F
	v_add3_u32 v248, v31, v248, v251                           // 00000000B0D4: D1FF00F8 07EFF11F
	v_cndmask_b32_e64 v29, v248, v250, s[74:75]                // 00000000B0DC: D100001D 012BF5F8
	v_and_or_b32 v75, v29, v249, v28                           // 00000000B0E4: D201004B 0473F31D
	v_accvgpr_read_b32 v30, a216                               // 00000000B0EC: D3D8401E 180001D8
	v_accvgpr_read_b32 v31, a217                               // 00000000B0F4: D3D8401F 180001D9
	v_mul_f32_e32 v30, s47, v30                                // 00000000B0FC: 0A3C3C2F
	v_mul_f32_e32 v31, s47, v31                                // 00000000B100: 0A3E3E2F
	v_cmp_u_f32_e64 s[74:75], v30, v30                         // 00000000B104: D048004A 00023D1E
	v_bfe_u32 v248, v30, 16, 1                                 // 00000000B10C: D1C800F8 0205211E
	v_add3_u32 v248, v30, v248, v251                           // 00000000B114: D1FF00F8 07EFF11E
	v_cndmask_b32_e64 v28, v248, v250, s[74:75]                // 00000000B11C: D100001C 012BF5F8
	v_lshrrev_b32_e32 v28, 16, v28                             // 00000000B124: 20383890
	v_cmp_u_f32_e64 s[74:75], v31, v31                         // 00000000B128: D048004A 00023F1F
	v_bfe_u32 v248, v31, 16, 1                                 // 00000000B130: D1C800F8 0205211F
	v_add3_u32 v248, v31, v248, v251                           // 00000000B138: D1FF00F8 07EFF11F
	v_cndmask_b32_e64 v29, v248, v250, s[74:75]                // 00000000B140: D100001D 012BF5F8
	v_and_or_b32 v76, v29, v249, v28                           // 00000000B148: D201004C 0473F31D
	v_accvgpr_read_b32 v30, a218                               // 00000000B150: D3D8401E 180001DA
	v_accvgpr_read_b32 v31, a219                               // 00000000B158: D3D8401F 180001DB
	v_mul_f32_e32 v30, s47, v30                                // 00000000B160: 0A3C3C2F
	v_mul_f32_e32 v31, s47, v31                                // 00000000B164: 0A3E3E2F
	v_cmp_u_f32_e64 s[74:75], v30, v30                         // 00000000B168: D048004A 00023D1E
	v_bfe_u32 v248, v30, 16, 1                                 // 00000000B170: D1C800F8 0205211E
	v_add3_u32 v248, v30, v248, v251                           // 00000000B178: D1FF00F8 07EFF11E
	v_cndmask_b32_e64 v28, v248, v250, s[74:75]                // 00000000B180: D100001C 012BF5F8
	v_lshrrev_b32_e32 v28, 16, v28                             // 00000000B188: 20383890
	v_cmp_u_f32_e64 s[74:75], v31, v31                         // 00000000B18C: D048004A 00023F1F
	v_bfe_u32 v248, v31, 16, 1                                 // 00000000B194: D1C800F8 0205211F
	v_add3_u32 v248, v31, v248, v251                           // 00000000B19C: D1FF00F8 07EFF11F
	v_cndmask_b32_e64 v29, v248, v250, s[74:75]                // 00000000B1A4: D100001D 012BF5F8
	v_and_or_b32 v77, v29, v249, v28                           // 00000000B1AC: D201004D 0473F31D
	v_accvgpr_read_b32 v30, a220                               // 00000000B1B4: D3D8401E 180001DC
	v_accvgpr_read_b32 v31, a221                               // 00000000B1BC: D3D8401F 180001DD
	v_mul_f32_e32 v30, s47, v30                                // 00000000B1C4: 0A3C3C2F
	v_mul_f32_e32 v31, s47, v31                                // 00000000B1C8: 0A3E3E2F
	v_cmp_u_f32_e64 s[74:75], v30, v30                         // 00000000B1CC: D048004A 00023D1E
	v_bfe_u32 v248, v30, 16, 1                                 // 00000000B1D4: D1C800F8 0205211E
	v_add3_u32 v248, v30, v248, v251                           // 00000000B1DC: D1FF00F8 07EFF11E
	v_cndmask_b32_e64 v28, v248, v250, s[74:75]                // 00000000B1E4: D100001C 012BF5F8
	v_lshrrev_b32_e32 v28, 16, v28                             // 00000000B1EC: 20383890
	v_cmp_u_f32_e64 s[74:75], v31, v31                         // 00000000B1F0: D048004A 00023F1F
	v_bfe_u32 v248, v31, 16, 1                                 // 00000000B1F8: D1C800F8 0205211F
	v_add3_u32 v248, v31, v248, v251                           // 00000000B200: D1FF00F8 07EFF11F
	v_cndmask_b32_e64 v29, v248, v250, s[74:75]                // 00000000B208: D100001D 012BF5F8
	v_and_or_b32 v78, v29, v249, v28                           // 00000000B210: D201004E 0473F31D
	v_accvgpr_read_b32 v30, a222                               // 00000000B218: D3D8401E 180001DE
	v_accvgpr_read_b32 v31, a223                               // 00000000B220: D3D8401F 180001DF
	v_mul_f32_e32 v30, s47, v30                                // 00000000B228: 0A3C3C2F
	v_mul_f32_e32 v31, s47, v31                                // 00000000B22C: 0A3E3E2F
	v_cmp_u_f32_e64 s[74:75], v30, v30                         // 00000000B230: D048004A 00023D1E
	v_bfe_u32 v248, v30, 16, 1                                 // 00000000B238: D1C800F8 0205211E
	v_add3_u32 v248, v30, v248, v251                           // 00000000B240: D1FF00F8 07EFF11E
	v_cndmask_b32_e64 v28, v248, v250, s[74:75]                // 00000000B248: D100001C 012BF5F8
	v_lshrrev_b32_e32 v28, 16, v28                             // 00000000B250: 20383890
	v_cmp_u_f32_e64 s[74:75], v31, v31                         // 00000000B254: D048004A 00023F1F
	v_bfe_u32 v248, v31, 16, 1                                 // 00000000B25C: D1C800F8 0205211F
	v_add3_u32 v248, v31, v248, v251                           // 00000000B264: D1FF00F8 07EFF11F
	v_cndmask_b32_e64 v29, v248, v250, s[74:75]                // 00000000B26C: D100001D 012BF5F8
	v_and_or_b32 v79, v29, v249, v28                           // 00000000B274: D201004F 0473F31D
	ds_write_b64 v25, v[64:65] offset:16896                    // 00000000B27C: D89A4200 00004019
	ds_write_b64 v25, v[66:67] offset:17424                    // 00000000B284: D89A4410 00004219
	ds_write_b64 v25, v[68:69] offset:17952                    // 00000000B28C: D89A4620 00004419
	ds_write_b64 v25, v[70:71] offset:18480                    // 00000000B294: D89A4830 00004619
	ds_write_b64 v25, v[72:73] offset:19008                    // 00000000B29C: D89A4A40 00004819
	ds_write_b64 v25, v[74:75] offset:19536                    // 00000000B2A4: D89A4C50 00004A19
	ds_write_b64 v25, v[76:77] offset:20064                    // 00000000B2AC: D89A4E60 00004C19
	ds_write_b64 v25, v[78:79] offset:20592                    // 00000000B2B4: D89A5070 00004E19
	s_waitcnt lgkmcnt(0)                                       // 00000000B2BC: BF8CC07F
	s_barrier                                                  // 00000000B2C0: BF8A0000
	ds_read_b64 v[64:65], v24 offset:16896                     // 00000000B2C4: D8EC4200 40000018
	ds_read_b64 v[66:67], v24 offset:17024                     // 00000000B2CC: D8EC4280 42000018
	ds_read_b64 v[68:69], v24 offset:16928                     // 00000000B2D4: D8EC4220 44000018
	ds_read_b64 v[70:71], v24 offset:17056                     // 00000000B2DC: D8EC42A0 46000018
	ds_read_b64 v[72:73], v24 offset:16960                     // 00000000B2E4: D8EC4240 48000018
	ds_read_b64 v[74:75], v24 offset:17088                     // 00000000B2EC: D8EC42C0 4A000018
	ds_read_b64 v[76:77], v24 offset:16992                     // 00000000B2F4: D8EC4260 4C000018
	ds_read_b64 v[78:79], v24 offset:17120                     // 00000000B2FC: D8EC42E0 4E000018
	s_waitcnt lgkmcnt(0)                                       // 00000000B304: BF8CC07F
	s_mov_b32 s70, s52                                         // 00000000B308: BEC60034
	s_mov_b64 exec, s[90:91]                                   // 00000000B30C: BEFE015A
	buffer_store_dwordx4 v[64:67], v5, s[36:39], 0 idxen       // 00000000B310: E07C2000 80094005
	s_mov_b64 exec, s[86:87]                                   // 00000000B318: BEFE0156
	v_add_u32_e32 v5, s70, v5                                  // 00000000B31C: 680A0A46
	s_mov_b64 exec, s[90:91]                                   // 00000000B320: BEFE015A
	buffer_store_dwordx4 v[68:71], v5, s[36:39], 0 idxen       // 00000000B324: E07C2000 80094405
	s_mov_b64 exec, s[86:87]                                   // 00000000B32C: BEFE0156
	v_add_u32_e32 v5, s70, v5                                  // 00000000B330: 680A0A46
	s_mov_b64 exec, s[90:91]                                   // 00000000B334: BEFE015A
	buffer_store_dwordx4 v[72:75], v5, s[36:39], 0 idxen       // 00000000B338: E07C2000 80094805
	s_mov_b64 exec, s[86:87]                                   // 00000000B340: BEFE0156
	v_add_u32_e32 v5, s70, v5                                  // 00000000B344: 680A0A46
	s_mov_b64 exec, s[90:91]                                   // 00000000B348: BEFE015A
	buffer_store_dwordx4 v[76:79], v5, s[36:39], 0 idxen       // 00000000B34C: E07C2000 80094C05
	s_mov_b64 exec, s[86:87]                                   // 00000000B354: BEFE0156
	v_add_u32_e32 v5, s70, v5                                  // 00000000B358: 680A0A46
	s_mul_i32 s60, 12, s70                                     // 00000000B35C: 923C468C
	v_add_u32_e32 v5, s60, v5                                  // 00000000B360: 680A0A3C
	s_barrier                                                  // 00000000B364: BF8A0000
	s_cmp_ge_i32 2, s73                                        // 00000000B368: BF034982
	s_cbranch_scc1 label_1F41                                  // 00000000B36C: BF8501CD
	v_accvgpr_read_b32 v30, a224                               // 00000000B370: D3D8401E 180001E0
	v_accvgpr_read_b32 v31, a225                               // 00000000B378: D3D8401F 180001E1
	v_mul_f32_e32 v30, s47, v30                                // 00000000B380: 0A3C3C2F
	v_mul_f32_e32 v31, s47, v31                                // 00000000B384: 0A3E3E2F
	v_cmp_u_f32_e64 s[74:75], v30, v30                         // 00000000B388: D048004A 00023D1E
	v_bfe_u32 v248, v30, 16, 1                                 // 00000000B390: D1C800F8 0205211E
	v_add3_u32 v248, v30, v248, v251                           // 00000000B398: D1FF00F8 07EFF11E
	v_cndmask_b32_e64 v28, v248, v250, s[74:75]                // 00000000B3A0: D100001C 012BF5F8
	v_lshrrev_b32_e32 v28, 16, v28                             // 00000000B3A8: 20383890
	v_cmp_u_f32_e64 s[74:75], v31, v31                         // 00000000B3AC: D048004A 00023F1F
	v_bfe_u32 v248, v31, 16, 1                                 // 00000000B3B4: D1C800F8 0205211F
	v_add3_u32 v248, v31, v248, v251                           // 00000000B3BC: D1FF00F8 07EFF11F
	v_cndmask_b32_e64 v29, v248, v250, s[74:75]                // 00000000B3C4: D100001D 012BF5F8
	v_and_or_b32 v80, v29, v249, v28                           // 00000000B3CC: D2010050 0473F31D
	v_accvgpr_read_b32 v30, a226                               // 00000000B3D4: D3D8401E 180001E2
	v_accvgpr_read_b32 v31, a227                               // 00000000B3DC: D3D8401F 180001E3
	v_mul_f32_e32 v30, s47, v30                                // 00000000B3E4: 0A3C3C2F
	v_mul_f32_e32 v31, s47, v31                                // 00000000B3E8: 0A3E3E2F
	v_cmp_u_f32_e64 s[74:75], v30, v30                         // 00000000B3EC: D048004A 00023D1E
	v_bfe_u32 v248, v30, 16, 1                                 // 00000000B3F4: D1C800F8 0205211E
	v_add3_u32 v248, v30, v248, v251                           // 00000000B3FC: D1FF00F8 07EFF11E
	v_cndmask_b32_e64 v28, v248, v250, s[74:75]                // 00000000B404: D100001C 012BF5F8
	v_lshrrev_b32_e32 v28, 16, v28                             // 00000000B40C: 20383890
	v_cmp_u_f32_e64 s[74:75], v31, v31                         // 00000000B410: D048004A 00023F1F
	v_bfe_u32 v248, v31, 16, 1                                 // 00000000B418: D1C800F8 0205211F
	v_add3_u32 v248, v31, v248, v251                           // 00000000B420: D1FF00F8 07EFF11F
	v_cndmask_b32_e64 v29, v248, v250, s[74:75]                // 00000000B428: D100001D 012BF5F8
	v_and_or_b32 v81, v29, v249, v28                           // 00000000B430: D2010051 0473F31D
	v_accvgpr_read_b32 v30, a228                               // 00000000B438: D3D8401E 180001E4
	v_accvgpr_read_b32 v31, a229                               // 00000000B440: D3D8401F 180001E5
	v_mul_f32_e32 v30, s47, v30                                // 00000000B448: 0A3C3C2F
	v_mul_f32_e32 v31, s47, v31                                // 00000000B44C: 0A3E3E2F
	v_cmp_u_f32_e64 s[74:75], v30, v30                         // 00000000B450: D048004A 00023D1E
	v_bfe_u32 v248, v30, 16, 1                                 // 00000000B458: D1C800F8 0205211E
	v_add3_u32 v248, v30, v248, v251                           // 00000000B460: D1FF00F8 07EFF11E
	v_cndmask_b32_e64 v28, v248, v250, s[74:75]                // 00000000B468: D100001C 012BF5F8
	v_lshrrev_b32_e32 v28, 16, v28                             // 00000000B470: 20383890
	v_cmp_u_f32_e64 s[74:75], v31, v31                         // 00000000B474: D048004A 00023F1F
	v_bfe_u32 v248, v31, 16, 1                                 // 00000000B47C: D1C800F8 0205211F
	v_add3_u32 v248, v31, v248, v251                           // 00000000B484: D1FF00F8 07EFF11F
	v_cndmask_b32_e64 v29, v248, v250, s[74:75]                // 00000000B48C: D100001D 012BF5F8
	v_and_or_b32 v82, v29, v249, v28                           // 00000000B494: D2010052 0473F31D
	v_accvgpr_read_b32 v30, a230                               // 00000000B49C: D3D8401E 180001E6
	v_accvgpr_read_b32 v31, a231                               // 00000000B4A4: D3D8401F 180001E7
	v_mul_f32_e32 v30, s47, v30                                // 00000000B4AC: 0A3C3C2F
	v_mul_f32_e32 v31, s47, v31                                // 00000000B4B0: 0A3E3E2F
	v_cmp_u_f32_e64 s[74:75], v30, v30                         // 00000000B4B4: D048004A 00023D1E
	v_bfe_u32 v248, v30, 16, 1                                 // 00000000B4BC: D1C800F8 0205211E
	v_add3_u32 v248, v30, v248, v251                           // 00000000B4C4: D1FF00F8 07EFF11E
	v_cndmask_b32_e64 v28, v248, v250, s[74:75]                // 00000000B4CC: D100001C 012BF5F8
	v_lshrrev_b32_e32 v28, 16, v28                             // 00000000B4D4: 20383890
	v_cmp_u_f32_e64 s[74:75], v31, v31                         // 00000000B4D8: D048004A 00023F1F
	v_bfe_u32 v248, v31, 16, 1                                 // 00000000B4E0: D1C800F8 0205211F
	v_add3_u32 v248, v31, v248, v251                           // 00000000B4E8: D1FF00F8 07EFF11F
	v_cndmask_b32_e64 v29, v248, v250, s[74:75]                // 00000000B4F0: D100001D 012BF5F8
	v_and_or_b32 v83, v29, v249, v28                           // 00000000B4F8: D2010053 0473F31D
	v_accvgpr_read_b32 v30, a232                               // 00000000B500: D3D8401E 180001E8
	v_accvgpr_read_b32 v31, a233                               // 00000000B508: D3D8401F 180001E9
	v_mul_f32_e32 v30, s47, v30                                // 00000000B510: 0A3C3C2F
	v_mul_f32_e32 v31, s47, v31                                // 00000000B514: 0A3E3E2F
	v_cmp_u_f32_e64 s[74:75], v30, v30                         // 00000000B518: D048004A 00023D1E
	v_bfe_u32 v248, v30, 16, 1                                 // 00000000B520: D1C800F8 0205211E
	v_add3_u32 v248, v30, v248, v251                           // 00000000B528: D1FF00F8 07EFF11E
	v_cndmask_b32_e64 v28, v248, v250, s[74:75]                // 00000000B530: D100001C 012BF5F8
	v_lshrrev_b32_e32 v28, 16, v28                             // 00000000B538: 20383890
	v_cmp_u_f32_e64 s[74:75], v31, v31                         // 00000000B53C: D048004A 00023F1F
	v_bfe_u32 v248, v31, 16, 1                                 // 00000000B544: D1C800F8 0205211F
	v_add3_u32 v248, v31, v248, v251                           // 00000000B54C: D1FF00F8 07EFF11F
	v_cndmask_b32_e64 v29, v248, v250, s[74:75]                // 00000000B554: D100001D 012BF5F8
	v_and_or_b32 v84, v29, v249, v28                           // 00000000B55C: D2010054 0473F31D
	v_accvgpr_read_b32 v30, a234                               // 00000000B564: D3D8401E 180001EA
	v_accvgpr_read_b32 v31, a235                               // 00000000B56C: D3D8401F 180001EB
	v_mul_f32_e32 v30, s47, v30                                // 00000000B574: 0A3C3C2F
	v_mul_f32_e32 v31, s47, v31                                // 00000000B578: 0A3E3E2F
	v_cmp_u_f32_e64 s[74:75], v30, v30                         // 00000000B57C: D048004A 00023D1E
	v_bfe_u32 v248, v30, 16, 1                                 // 00000000B584: D1C800F8 0205211E
	v_add3_u32 v248, v30, v248, v251                           // 00000000B58C: D1FF00F8 07EFF11E
	v_cndmask_b32_e64 v28, v248, v250, s[74:75]                // 00000000B594: D100001C 012BF5F8
	v_lshrrev_b32_e32 v28, 16, v28                             // 00000000B59C: 20383890
	v_cmp_u_f32_e64 s[74:75], v31, v31                         // 00000000B5A0: D048004A 00023F1F
	v_bfe_u32 v248, v31, 16, 1                                 // 00000000B5A8: D1C800F8 0205211F
	v_add3_u32 v248, v31, v248, v251                           // 00000000B5B0: D1FF00F8 07EFF11F
	v_cndmask_b32_e64 v29, v248, v250, s[74:75]                // 00000000B5B8: D100001D 012BF5F8
	v_and_or_b32 v85, v29, v249, v28                           // 00000000B5C0: D2010055 0473F31D
	v_accvgpr_read_b32 v30, a236                               // 00000000B5C8: D3D8401E 180001EC
	v_accvgpr_read_b32 v31, a237                               // 00000000B5D0: D3D8401F 180001ED
	v_mul_f32_e32 v30, s47, v30                                // 00000000B5D8: 0A3C3C2F
	v_mul_f32_e32 v31, s47, v31                                // 00000000B5DC: 0A3E3E2F
	v_cmp_u_f32_e64 s[74:75], v30, v30                         // 00000000B5E0: D048004A 00023D1E
	v_bfe_u32 v248, v30, 16, 1                                 // 00000000B5E8: D1C800F8 0205211E
	v_add3_u32 v248, v30, v248, v251                           // 00000000B5F0: D1FF00F8 07EFF11E
	v_cndmask_b32_e64 v28, v248, v250, s[74:75]                // 00000000B5F8: D100001C 012BF5F8
	v_lshrrev_b32_e32 v28, 16, v28                             // 00000000B600: 20383890
	v_cmp_u_f32_e64 s[74:75], v31, v31                         // 00000000B604: D048004A 00023F1F
	v_bfe_u32 v248, v31, 16, 1                                 // 00000000B60C: D1C800F8 0205211F
	v_add3_u32 v248, v31, v248, v251                           // 00000000B614: D1FF00F8 07EFF11F
	v_cndmask_b32_e64 v29, v248, v250, s[74:75]                // 00000000B61C: D100001D 012BF5F8
	v_and_or_b32 v86, v29, v249, v28                           // 00000000B624: D2010056 0473F31D
	v_accvgpr_read_b32 v30, a238                               // 00000000B62C: D3D8401E 180001EE
	v_accvgpr_read_b32 v31, a239                               // 00000000B634: D3D8401F 180001EF
	v_mul_f32_e32 v30, s47, v30                                // 00000000B63C: 0A3C3C2F
	v_mul_f32_e32 v31, s47, v31                                // 00000000B640: 0A3E3E2F
	v_cmp_u_f32_e64 s[74:75], v30, v30                         // 00000000B644: D048004A 00023D1E
	v_bfe_u32 v248, v30, 16, 1                                 // 00000000B64C: D1C800F8 0205211E
	v_add3_u32 v248, v30, v248, v251                           // 00000000B654: D1FF00F8 07EFF11E
	v_cndmask_b32_e64 v28, v248, v250, s[74:75]                // 00000000B65C: D100001C 012BF5F8
	v_lshrrev_b32_e32 v28, 16, v28                             // 00000000B664: 20383890
	v_cmp_u_f32_e64 s[74:75], v31, v31                         // 00000000B668: D048004A 00023F1F
	v_bfe_u32 v248, v31, 16, 1                                 // 00000000B670: D1C800F8 0205211F
	v_add3_u32 v248, v31, v248, v251                           // 00000000B678: D1FF00F8 07EFF11F
	v_cndmask_b32_e64 v29, v248, v250, s[74:75]                // 00000000B680: D100001D 012BF5F8
	v_and_or_b32 v87, v29, v249, v28                           // 00000000B688: D2010057 0473F31D
	v_accvgpr_read_b32 v30, a240                               // 00000000B690: D3D8401E 180001F0
	v_accvgpr_read_b32 v31, a241                               // 00000000B698: D3D8401F 180001F1
	v_mul_f32_e32 v30, s47, v30                                // 00000000B6A0: 0A3C3C2F
	v_mul_f32_e32 v31, s47, v31                                // 00000000B6A4: 0A3E3E2F
	v_cmp_u_f32_e64 s[74:75], v30, v30                         // 00000000B6A8: D048004A 00023D1E
	v_bfe_u32 v248, v30, 16, 1                                 // 00000000B6B0: D1C800F8 0205211E
	v_add3_u32 v248, v30, v248, v251                           // 00000000B6B8: D1FF00F8 07EFF11E
	v_cndmask_b32_e64 v28, v248, v250, s[74:75]                // 00000000B6C0: D100001C 012BF5F8
	v_lshrrev_b32_e32 v28, 16, v28                             // 00000000B6C8: 20383890
	v_cmp_u_f32_e64 s[74:75], v31, v31                         // 00000000B6CC: D048004A 00023F1F
	v_bfe_u32 v248, v31, 16, 1                                 // 00000000B6D4: D1C800F8 0205211F
	v_add3_u32 v248, v31, v248, v251                           // 00000000B6DC: D1FF00F8 07EFF11F
	v_cndmask_b32_e64 v29, v248, v250, s[74:75]                // 00000000B6E4: D100001D 012BF5F8
	v_and_or_b32 v88, v29, v249, v28                           // 00000000B6EC: D2010058 0473F31D
	v_accvgpr_read_b32 v30, a242                               // 00000000B6F4: D3D8401E 180001F2
	v_accvgpr_read_b32 v31, a243                               // 00000000B6FC: D3D8401F 180001F3
	v_mul_f32_e32 v30, s47, v30                                // 00000000B704: 0A3C3C2F
	v_mul_f32_e32 v31, s47, v31                                // 00000000B708: 0A3E3E2F
	v_cmp_u_f32_e64 s[74:75], v30, v30                         // 00000000B70C: D048004A 00023D1E
	v_bfe_u32 v248, v30, 16, 1                                 // 00000000B714: D1C800F8 0205211E
	v_add3_u32 v248, v30, v248, v251                           // 00000000B71C: D1FF00F8 07EFF11E
	v_cndmask_b32_e64 v28, v248, v250, s[74:75]                // 00000000B724: D100001C 012BF5F8
	v_lshrrev_b32_e32 v28, 16, v28                             // 00000000B72C: 20383890
	v_cmp_u_f32_e64 s[74:75], v31, v31                         // 00000000B730: D048004A 00023F1F
	v_bfe_u32 v248, v31, 16, 1                                 // 00000000B738: D1C800F8 0205211F
	v_add3_u32 v248, v31, v248, v251                           // 00000000B740: D1FF00F8 07EFF11F
	v_cndmask_b32_e64 v29, v248, v250, s[74:75]                // 00000000B748: D100001D 012BF5F8
	v_and_or_b32 v89, v29, v249, v28                           // 00000000B750: D2010059 0473F31D
	v_accvgpr_read_b32 v30, a244                               // 00000000B758: D3D8401E 180001F4
	v_accvgpr_read_b32 v31, a245                               // 00000000B760: D3D8401F 180001F5
	v_mul_f32_e32 v30, s47, v30                                // 00000000B768: 0A3C3C2F
	v_mul_f32_e32 v31, s47, v31                                // 00000000B76C: 0A3E3E2F
	v_cmp_u_f32_e64 s[74:75], v30, v30                         // 00000000B770: D048004A 00023D1E
	v_bfe_u32 v248, v30, 16, 1                                 // 00000000B778: D1C800F8 0205211E
	v_add3_u32 v248, v30, v248, v251                           // 00000000B780: D1FF00F8 07EFF11E
	v_cndmask_b32_e64 v28, v248, v250, s[74:75]                // 00000000B788: D100001C 012BF5F8
	v_lshrrev_b32_e32 v28, 16, v28                             // 00000000B790: 20383890
	v_cmp_u_f32_e64 s[74:75], v31, v31                         // 00000000B794: D048004A 00023F1F
	v_bfe_u32 v248, v31, 16, 1                                 // 00000000B79C: D1C800F8 0205211F
	v_add3_u32 v248, v31, v248, v251                           // 00000000B7A4: D1FF00F8 07EFF11F
	v_cndmask_b32_e64 v29, v248, v250, s[74:75]                // 00000000B7AC: D100001D 012BF5F8
	v_and_or_b32 v90, v29, v249, v28                           // 00000000B7B4: D201005A 0473F31D
	v_accvgpr_read_b32 v30, a246                               // 00000000B7BC: D3D8401E 180001F6
	v_accvgpr_read_b32 v31, a247                               // 00000000B7C4: D3D8401F 180001F7
	v_mul_f32_e32 v30, s47, v30                                // 00000000B7CC: 0A3C3C2F
	v_mul_f32_e32 v31, s47, v31                                // 00000000B7D0: 0A3E3E2F
	v_cmp_u_f32_e64 s[74:75], v30, v30                         // 00000000B7D4: D048004A 00023D1E
	v_bfe_u32 v248, v30, 16, 1                                 // 00000000B7DC: D1C800F8 0205211E
	v_add3_u32 v248, v30, v248, v251                           // 00000000B7E4: D1FF00F8 07EFF11E
	v_cndmask_b32_e64 v28, v248, v250, s[74:75]                // 00000000B7EC: D100001C 012BF5F8
	v_lshrrev_b32_e32 v28, 16, v28                             // 00000000B7F4: 20383890
	v_cmp_u_f32_e64 s[74:75], v31, v31                         // 00000000B7F8: D048004A 00023F1F
	v_bfe_u32 v248, v31, 16, 1                                 // 00000000B800: D1C800F8 0205211F
	v_add3_u32 v248, v31, v248, v251                           // 00000000B808: D1FF00F8 07EFF11F
	v_cndmask_b32_e64 v29, v248, v250, s[74:75]                // 00000000B810: D100001D 012BF5F8
	v_and_or_b32 v91, v29, v249, v28                           // 00000000B818: D201005B 0473F31D
	v_accvgpr_read_b32 v30, a248                               // 00000000B820: D3D8401E 180001F8
	v_accvgpr_read_b32 v31, a249                               // 00000000B828: D3D8401F 180001F9
	v_mul_f32_e32 v30, s47, v30                                // 00000000B830: 0A3C3C2F
	v_mul_f32_e32 v31, s47, v31                                // 00000000B834: 0A3E3E2F
	v_cmp_u_f32_e64 s[74:75], v30, v30                         // 00000000B838: D048004A 00023D1E
	v_bfe_u32 v248, v30, 16, 1                                 // 00000000B840: D1C800F8 0205211E
	v_add3_u32 v248, v30, v248, v251                           // 00000000B848: D1FF00F8 07EFF11E
	v_cndmask_b32_e64 v28, v248, v250, s[74:75]                // 00000000B850: D100001C 012BF5F8
	v_lshrrev_b32_e32 v28, 16, v28                             // 00000000B858: 20383890
	v_cmp_u_f32_e64 s[74:75], v31, v31                         // 00000000B85C: D048004A 00023F1F
	v_bfe_u32 v248, v31, 16, 1                                 // 00000000B864: D1C800F8 0205211F
	v_add3_u32 v248, v31, v248, v251                           // 00000000B86C: D1FF00F8 07EFF11F
	v_cndmask_b32_e64 v29, v248, v250, s[74:75]                // 00000000B874: D100001D 012BF5F8
	v_and_or_b32 v92, v29, v249, v28                           // 00000000B87C: D201005C 0473F31D
	v_accvgpr_read_b32 v30, a250                               // 00000000B884: D3D8401E 180001FA
	v_accvgpr_read_b32 v31, a251                               // 00000000B88C: D3D8401F 180001FB
	v_mul_f32_e32 v30, s47, v30                                // 00000000B894: 0A3C3C2F
	v_mul_f32_e32 v31, s47, v31                                // 00000000B898: 0A3E3E2F
	v_cmp_u_f32_e64 s[74:75], v30, v30                         // 00000000B89C: D048004A 00023D1E
	v_bfe_u32 v248, v30, 16, 1                                 // 00000000B8A4: D1C800F8 0205211E
	v_add3_u32 v248, v30, v248, v251                           // 00000000B8AC: D1FF00F8 07EFF11E
	v_cndmask_b32_e64 v28, v248, v250, s[74:75]                // 00000000B8B4: D100001C 012BF5F8
	v_lshrrev_b32_e32 v28, 16, v28                             // 00000000B8BC: 20383890
	v_cmp_u_f32_e64 s[74:75], v31, v31                         // 00000000B8C0: D048004A 00023F1F
	v_bfe_u32 v248, v31, 16, 1                                 // 00000000B8C8: D1C800F8 0205211F
	v_add3_u32 v248, v31, v248, v251                           // 00000000B8D0: D1FF00F8 07EFF11F
	v_cndmask_b32_e64 v29, v248, v250, s[74:75]                // 00000000B8D8: D100001D 012BF5F8
	v_and_or_b32 v93, v29, v249, v28                           // 00000000B8E0: D201005D 0473F31D
	v_accvgpr_read_b32 v30, a252                               // 00000000B8E8: D3D8401E 180001FC
	v_accvgpr_read_b32 v31, a253                               // 00000000B8F0: D3D8401F 180001FD
	v_mul_f32_e32 v30, s47, v30                                // 00000000B8F8: 0A3C3C2F
	v_mul_f32_e32 v31, s47, v31                                // 00000000B8FC: 0A3E3E2F
	v_cmp_u_f32_e64 s[74:75], v30, v30                         // 00000000B900: D048004A 00023D1E
	v_bfe_u32 v248, v30, 16, 1                                 // 00000000B908: D1C800F8 0205211E
	v_add3_u32 v248, v30, v248, v251                           // 00000000B910: D1FF00F8 07EFF11E
	v_cndmask_b32_e64 v28, v248, v250, s[74:75]                // 00000000B918: D100001C 012BF5F8
	v_lshrrev_b32_e32 v28, 16, v28                             // 00000000B920: 20383890
	v_cmp_u_f32_e64 s[74:75], v31, v31                         // 00000000B924: D048004A 00023F1F
	v_bfe_u32 v248, v31, 16, 1                                 // 00000000B92C: D1C800F8 0205211F
	v_add3_u32 v248, v31, v248, v251                           // 00000000B934: D1FF00F8 07EFF11F
	v_cndmask_b32_e64 v29, v248, v250, s[74:75]                // 00000000B93C: D100001D 012BF5F8
	v_and_or_b32 v94, v29, v249, v28                           // 00000000B944: D201005E 0473F31D
	v_accvgpr_read_b32 v30, a254                               // 00000000B94C: D3D8401E 180001FE
	v_accvgpr_read_b32 v31, a255                               // 00000000B954: D3D8401F 180001FF
	v_mul_f32_e32 v30, s47, v30                                // 00000000B95C: 0A3C3C2F
	v_mul_f32_e32 v31, s47, v31                                // 00000000B960: 0A3E3E2F
	v_cmp_u_f32_e64 s[74:75], v30, v30                         // 00000000B964: D048004A 00023D1E
	v_bfe_u32 v248, v30, 16, 1                                 // 00000000B96C: D1C800F8 0205211E
	v_add3_u32 v248, v30, v248, v251                           // 00000000B974: D1FF00F8 07EFF11E
	v_cndmask_b32_e64 v28, v248, v250, s[74:75]                // 00000000B97C: D100001C 012BF5F8
	v_lshrrev_b32_e32 v28, 16, v28                             // 00000000B984: 20383890
	v_cmp_u_f32_e64 s[74:75], v31, v31                         // 00000000B988: D048004A 00023F1F
	v_bfe_u32 v248, v31, 16, 1                                 // 00000000B990: D1C800F8 0205211F
	v_add3_u32 v248, v31, v248, v251                           // 00000000B998: D1FF00F8 07EFF11F
	v_cndmask_b32_e64 v29, v248, v250, s[74:75]                // 00000000B9A0: D100001D 012BF5F8
	v_and_or_b32 v95, v29, v249, v28                           // 00000000B9A8: D201005F 0473F31D
	ds_write_b64 v25, v[80:81] offset:33792                    // 00000000B9B0: D89A8400 00005019
	ds_write_b64 v25, v[82:83] offset:34320                    // 00000000B9B8: D89A8610 00005219
	ds_write_b64 v25, v[84:85] offset:34848                    // 00000000B9C0: D89A8820 00005419
	ds_write_b64 v25, v[86:87] offset:35376                    // 00000000B9C8: D89A8A30 00005619
	ds_write_b64 v25, v[88:89] offset:35904                    // 00000000B9D0: D89A8C40 00005819
	ds_write_b64 v25, v[90:91] offset:36432                    // 00000000B9D8: D89A8E50 00005A19
	ds_write_b64 v25, v[92:93] offset:36960                    // 00000000B9E0: D89A9060 00005C19
	ds_write_b64 v25, v[94:95] offset:37488                    // 00000000B9E8: D89A9270 00005E19
	s_waitcnt lgkmcnt(0)                                       // 00000000B9F0: BF8CC07F
	s_barrier                                                  // 00000000B9F4: BF8A0000
	ds_read_b64 v[80:81], v24 offset:33792                     // 00000000B9F8: D8EC8400 50000018
	ds_read_b64 v[82:83], v24 offset:33920                     // 00000000BA00: D8EC8480 52000018
	ds_read_b64 v[84:85], v24 offset:33824                     // 00000000BA08: D8EC8420 54000018
	ds_read_b64 v[86:87], v24 offset:33952                     // 00000000BA10: D8EC84A0 56000018
	ds_read_b64 v[88:89], v24 offset:33856                     // 00000000BA18: D8EC8440 58000018
	ds_read_b64 v[90:91], v24 offset:33984                     // 00000000BA20: D8EC84C0 5A000018
	ds_read_b64 v[92:93], v24 offset:33888                     // 00000000BA28: D8EC8460 5C000018
	ds_read_b64 v[94:95], v24 offset:34016                     // 00000000BA30: D8EC84E0 5E000018
	s_waitcnt lgkmcnt(0)                                       // 00000000BA38: BF8CC07F
	s_mov_b32 s70, s52                                         // 00000000BA3C: BEC60034
	s_mov_b64 exec, s[90:91]                                   // 00000000BA40: BEFE015A
	buffer_store_dwordx4 v[80:83], v5, s[36:39], 0 idxen       // 00000000BA44: E07C2000 80095005
	s_mov_b64 exec, s[86:87]                                   // 00000000BA4C: BEFE0156
	v_add_u32_e32 v5, s70, v5                                  // 00000000BA50: 680A0A46
	s_mov_b64 exec, s[90:91]                                   // 00000000BA54: BEFE015A
	buffer_store_dwordx4 v[84:87], v5, s[36:39], 0 idxen       // 00000000BA58: E07C2000 80095405
	s_mov_b64 exec, s[86:87]                                   // 00000000BA60: BEFE0156
	v_add_u32_e32 v5, s70, v5                                  // 00000000BA64: 680A0A46
	s_mov_b64 exec, s[90:91]                                   // 00000000BA68: BEFE015A
	buffer_store_dwordx4 v[88:91], v5, s[36:39], 0 idxen       // 00000000BA6C: E07C2000 80095805
	s_mov_b64 exec, s[86:87]                                   // 00000000BA74: BEFE0156
	v_add_u32_e32 v5, s70, v5                                  // 00000000BA78: 680A0A46
	s_mov_b64 exec, s[90:91]                                   // 00000000BA7C: BEFE015A
	buffer_store_dwordx4 v[92:95], v5, s[36:39], 0 idxen       // 00000000BA80: E07C2000 80095C05
	s_mov_b64 exec, s[86:87]                                   // 00000000BA88: BEFE0156
	v_add_u32_e32 v5, s70, v5                                  // 00000000BA8C: 680A0A46
	s_mul_i32 s60, 12, s70                                     // 00000000BA90: 923C468C
	v_add_u32_e32 v5, s60, v5                                  // 00000000BA94: 680A0A3C
	s_barrier                                                  // 00000000BA98: BF8A0000
	s_cmp_ge_i32 3, s73                                        // 00000000BA9C: BF034983
	s_cbranch_scc1 label_1F41                                  // 00000000BAA0: BF850000

000000000000baa4 <label_1F41>:
	v_mov_b32_e32 v30, v152                                    // 00000000BAA4: 7E3C0398
	v_mov_b32_e32 v31, v153                                    // 00000000BAA8: 7E3E0399
	v_cmp_u_f32_e64 s[74:75], v30, v30                         // 00000000BAAC: D048004A 00023D1E
	v_bfe_u32 v248, v30, 16, 1                                 // 00000000BAB4: D1C800F8 0205211E
	v_add3_u32 v248, v30, v248, v251                           // 00000000BABC: D1FF00F8 07EFF11E
	v_cndmask_b32_e64 v28, v248, v250, s[74:75]                // 00000000BAC4: D100001C 012BF5F8
	v_lshrrev_b32_e32 v28, 16, v28                             // 00000000BACC: 20383890
	v_cmp_u_f32_e64 s[74:75], v31, v31                         // 00000000BAD0: D048004A 00023F1F
	v_bfe_u32 v248, v31, 16, 1                                 // 00000000BAD8: D1C800F8 0205211F
	v_add3_u32 v248, v31, v248, v251                           // 00000000BAE0: D1FF00F8 07EFF11F
	v_cndmask_b32_e64 v29, v248, v250, s[74:75]                // 00000000BAE8: D100001D 012BF5F8
	v_and_or_b32 v152, v29, v249, v28                          // 00000000BAF0: D2010098 0473F31D
	v_mov_b32_e32 v30, v154                                    // 00000000BAF8: 7E3C039A
	v_mov_b32_e32 v31, v155                                    // 00000000BAFC: 7E3E039B
	v_cmp_u_f32_e64 s[74:75], v30, v30                         // 00000000BB00: D048004A 00023D1E
	v_bfe_u32 v248, v30, 16, 1                                 // 00000000BB08: D1C800F8 0205211E
	v_add3_u32 v248, v30, v248, v251                           // 00000000BB10: D1FF00F8 07EFF11E
	v_cndmask_b32_e64 v28, v248, v250, s[74:75]                // 00000000BB18: D100001C 012BF5F8
	v_lshrrev_b32_e32 v28, 16, v28                             // 00000000BB20: 20383890
	v_cmp_u_f32_e64 s[74:75], v31, v31                         // 00000000BB24: D048004A 00023F1F
	v_bfe_u32 v248, v31, 16, 1                                 // 00000000BB2C: D1C800F8 0205211F
	v_add3_u32 v248, v31, v248, v251                           // 00000000BB34: D1FF00F8 07EFF11F
	v_cndmask_b32_e64 v29, v248, v250, s[74:75]                // 00000000BB3C: D100001D 012BF5F8
	v_and_or_b32 v153, v29, v249, v28                          // 00000000BB44: D2010099 0473F31D
	v_mov_b32_e32 v30, v156                                    // 00000000BB4C: 7E3C039C
	v_mov_b32_e32 v31, v157                                    // 00000000BB50: 7E3E039D
	v_cmp_u_f32_e64 s[74:75], v30, v30                         // 00000000BB54: D048004A 00023D1E
	v_bfe_u32 v248, v30, 16, 1                                 // 00000000BB5C: D1C800F8 0205211E
	v_add3_u32 v248, v30, v248, v251                           // 00000000BB64: D1FF00F8 07EFF11E
	v_cndmask_b32_e64 v28, v248, v250, s[74:75]                // 00000000BB6C: D100001C 012BF5F8
	v_lshrrev_b32_e32 v28, 16, v28                             // 00000000BB74: 20383890
	v_cmp_u_f32_e64 s[74:75], v31, v31                         // 00000000BB78: D048004A 00023F1F
	v_bfe_u32 v248, v31, 16, 1                                 // 00000000BB80: D1C800F8 0205211F
	v_add3_u32 v248, v31, v248, v251                           // 00000000BB88: D1FF00F8 07EFF11F
	v_cndmask_b32_e64 v29, v248, v250, s[74:75]                // 00000000BB90: D100001D 012BF5F8
	v_and_or_b32 v154, v29, v249, v28                          // 00000000BB98: D201009A 0473F31D
	v_mov_b32_e32 v30, v158                                    // 00000000BBA0: 7E3C039E
	v_mov_b32_e32 v31, v159                                    // 00000000BBA4: 7E3E039F
	v_cmp_u_f32_e64 s[74:75], v30, v30                         // 00000000BBA8: D048004A 00023D1E
	v_bfe_u32 v248, v30, 16, 1                                 // 00000000BBB0: D1C800F8 0205211E
	v_add3_u32 v248, v30, v248, v251                           // 00000000BBB8: D1FF00F8 07EFF11E
	v_cndmask_b32_e64 v28, v248, v250, s[74:75]                // 00000000BBC0: D100001C 012BF5F8
	v_lshrrev_b32_e32 v28, 16, v28                             // 00000000BBC8: 20383890
	v_cmp_u_f32_e64 s[74:75], v31, v31                         // 00000000BBCC: D048004A 00023F1F
	v_bfe_u32 v248, v31, 16, 1                                 // 00000000BBD4: D1C800F8 0205211F
	v_add3_u32 v248, v31, v248, v251                           // 00000000BBDC: D1FF00F8 07EFF11F
	v_cndmask_b32_e64 v29, v248, v250, s[74:75]                // 00000000BBE4: D100001D 012BF5F8
	v_and_or_b32 v155, v29, v249, v28                          // 00000000BBEC: D201009B 0473F31D
	v_mov_b32_e32 v30, v160                                    // 00000000BBF4: 7E3C03A0
	v_mov_b32_e32 v31, v161                                    // 00000000BBF8: 7E3E03A1
	v_cmp_u_f32_e64 s[74:75], v30, v30                         // 00000000BBFC: D048004A 00023D1E
	v_bfe_u32 v248, v30, 16, 1                                 // 00000000BC04: D1C800F8 0205211E
	v_add3_u32 v248, v30, v248, v251                           // 00000000BC0C: D1FF00F8 07EFF11E
	v_cndmask_b32_e64 v28, v248, v250, s[74:75]                // 00000000BC14: D100001C 012BF5F8
	v_lshrrev_b32_e32 v28, 16, v28                             // 00000000BC1C: 20383890
	v_cmp_u_f32_e64 s[74:75], v31, v31                         // 00000000BC20: D048004A 00023F1F
	v_bfe_u32 v248, v31, 16, 1                                 // 00000000BC28: D1C800F8 0205211F
	v_add3_u32 v248, v31, v248, v251                           // 00000000BC30: D1FF00F8 07EFF11F
	v_cndmask_b32_e64 v29, v248, v250, s[74:75]                // 00000000BC38: D100001D 012BF5F8
	v_and_or_b32 v156, v29, v249, v28                          // 00000000BC40: D201009C 0473F31D
	v_mov_b32_e32 v30, v162                                    // 00000000BC48: 7E3C03A2
	v_mov_b32_e32 v31, v163                                    // 00000000BC4C: 7E3E03A3
	v_cmp_u_f32_e64 s[74:75], v30, v30                         // 00000000BC50: D048004A 00023D1E
	v_bfe_u32 v248, v30, 16, 1                                 // 00000000BC58: D1C800F8 0205211E
	v_add3_u32 v248, v30, v248, v251                           // 00000000BC60: D1FF00F8 07EFF11E
	v_cndmask_b32_e64 v28, v248, v250, s[74:75]                // 00000000BC68: D100001C 012BF5F8
	v_lshrrev_b32_e32 v28, 16, v28                             // 00000000BC70: 20383890
	v_cmp_u_f32_e64 s[74:75], v31, v31                         // 00000000BC74: D048004A 00023F1F
	v_bfe_u32 v248, v31, 16, 1                                 // 00000000BC7C: D1C800F8 0205211F
	v_add3_u32 v248, v31, v248, v251                           // 00000000BC84: D1FF00F8 07EFF11F
	v_cndmask_b32_e64 v29, v248, v250, s[74:75]                // 00000000BC8C: D100001D 012BF5F8
	v_and_or_b32 v157, v29, v249, v28                          // 00000000BC94: D201009D 0473F31D
	v_mov_b32_e32 v30, v164                                    // 00000000BC9C: 7E3C03A4
	v_mov_b32_e32 v31, v165                                    // 00000000BCA0: 7E3E03A5
	v_cmp_u_f32_e64 s[74:75], v30, v30                         // 00000000BCA4: D048004A 00023D1E
	v_bfe_u32 v248, v30, 16, 1                                 // 00000000BCAC: D1C800F8 0205211E
	v_add3_u32 v248, v30, v248, v251                           // 00000000BCB4: D1FF00F8 07EFF11E
	v_cndmask_b32_e64 v28, v248, v250, s[74:75]                // 00000000BCBC: D100001C 012BF5F8
	v_lshrrev_b32_e32 v28, 16, v28                             // 00000000BCC4: 20383890
	v_cmp_u_f32_e64 s[74:75], v31, v31                         // 00000000BCC8: D048004A 00023F1F
	v_bfe_u32 v248, v31, 16, 1                                 // 00000000BCD0: D1C800F8 0205211F
	v_add3_u32 v248, v31, v248, v251                           // 00000000BCD8: D1FF00F8 07EFF11F
	v_cndmask_b32_e64 v29, v248, v250, s[74:75]                // 00000000BCE0: D100001D 012BF5F8
	v_and_or_b32 v158, v29, v249, v28                          // 00000000BCE8: D201009E 0473F31D
	v_mov_b32_e32 v30, v166                                    // 00000000BCF0: 7E3C03A6
	v_mov_b32_e32 v31, v167                                    // 00000000BCF4: 7E3E03A7
	v_cmp_u_f32_e64 s[74:75], v30, v30                         // 00000000BCF8: D048004A 00023D1E
	v_bfe_u32 v248, v30, 16, 1                                 // 00000000BD00: D1C800F8 0205211E
	v_add3_u32 v248, v30, v248, v251                           // 00000000BD08: D1FF00F8 07EFF11E
	v_cndmask_b32_e64 v28, v248, v250, s[74:75]                // 00000000BD10: D100001C 012BF5F8
	v_lshrrev_b32_e32 v28, 16, v28                             // 00000000BD18: 20383890
	v_cmp_u_f32_e64 s[74:75], v31, v31                         // 00000000BD1C: D048004A 00023F1F
	v_bfe_u32 v248, v31, 16, 1                                 // 00000000BD24: D1C800F8 0205211F
	v_add3_u32 v248, v31, v248, v251                           // 00000000BD2C: D1FF00F8 07EFF11F
	v_cndmask_b32_e64 v29, v248, v250, s[74:75]                // 00000000BD34: D100001D 012BF5F8
	v_and_or_b32 v159, v29, v249, v28                          // 00000000BD3C: D201009F 0473F31D
	v_mov_b32_e32 v30, v168                                    // 00000000BD44: 7E3C03A8
	v_mov_b32_e32 v31, v169                                    // 00000000BD48: 7E3E03A9
	v_cmp_u_f32_e64 s[74:75], v30, v30                         // 00000000BD4C: D048004A 00023D1E
	v_bfe_u32 v248, v30, 16, 1                                 // 00000000BD54: D1C800F8 0205211E
	v_add3_u32 v248, v30, v248, v251                           // 00000000BD5C: D1FF00F8 07EFF11E
	v_cndmask_b32_e64 v28, v248, v250, s[74:75]                // 00000000BD64: D100001C 012BF5F8
	v_lshrrev_b32_e32 v28, 16, v28                             // 00000000BD6C: 20383890
	v_cmp_u_f32_e64 s[74:75], v31, v31                         // 00000000BD70: D048004A 00023F1F
	v_bfe_u32 v248, v31, 16, 1                                 // 00000000BD78: D1C800F8 0205211F
	v_add3_u32 v248, v31, v248, v251                           // 00000000BD80: D1FF00F8 07EFF11F
	v_cndmask_b32_e64 v29, v248, v250, s[74:75]                // 00000000BD88: D100001D 012BF5F8
	v_and_or_b32 v160, v29, v249, v28                          // 00000000BD90: D20100A0 0473F31D
	v_mov_b32_e32 v30, v170                                    // 00000000BD98: 7E3C03AA
	v_mov_b32_e32 v31, v171                                    // 00000000BD9C: 7E3E03AB
	v_cmp_u_f32_e64 s[74:75], v30, v30                         // 00000000BDA0: D048004A 00023D1E
	v_bfe_u32 v248, v30, 16, 1                                 // 00000000BDA8: D1C800F8 0205211E
	v_add3_u32 v248, v30, v248, v251                           // 00000000BDB0: D1FF00F8 07EFF11E
	v_cndmask_b32_e64 v28, v248, v250, s[74:75]                // 00000000BDB8: D100001C 012BF5F8
	v_lshrrev_b32_e32 v28, 16, v28                             // 00000000BDC0: 20383890
	v_cmp_u_f32_e64 s[74:75], v31, v31                         // 00000000BDC4: D048004A 00023F1F
	v_bfe_u32 v248, v31, 16, 1                                 // 00000000BDCC: D1C800F8 0205211F
	v_add3_u32 v248, v31, v248, v251                           // 00000000BDD4: D1FF00F8 07EFF11F
	v_cndmask_b32_e64 v29, v248, v250, s[74:75]                // 00000000BDDC: D100001D 012BF5F8
	v_and_or_b32 v161, v29, v249, v28                          // 00000000BDE4: D20100A1 0473F31D
	v_mov_b32_e32 v30, v172                                    // 00000000BDEC: 7E3C03AC
	v_mov_b32_e32 v31, v173                                    // 00000000BDF0: 7E3E03AD
	v_cmp_u_f32_e64 s[74:75], v30, v30                         // 00000000BDF4: D048004A 00023D1E
	v_bfe_u32 v248, v30, 16, 1                                 // 00000000BDFC: D1C800F8 0205211E
	v_add3_u32 v248, v30, v248, v251                           // 00000000BE04: D1FF00F8 07EFF11E
	v_cndmask_b32_e64 v28, v248, v250, s[74:75]                // 00000000BE0C: D100001C 012BF5F8
	v_lshrrev_b32_e32 v28, 16, v28                             // 00000000BE14: 20383890
	v_cmp_u_f32_e64 s[74:75], v31, v31                         // 00000000BE18: D048004A 00023F1F
	v_bfe_u32 v248, v31, 16, 1                                 // 00000000BE20: D1C800F8 0205211F
	v_add3_u32 v248, v31, v248, v251                           // 00000000BE28: D1FF00F8 07EFF11F
	v_cndmask_b32_e64 v29, v248, v250, s[74:75]                // 00000000BE30: D100001D 012BF5F8
	v_and_or_b32 v162, v29, v249, v28                          // 00000000BE38: D20100A2 0473F31D
	v_mov_b32_e32 v30, v174                                    // 00000000BE40: 7E3C03AE
	v_mov_b32_e32 v31, v175                                    // 00000000BE44: 7E3E03AF
	v_cmp_u_f32_e64 s[74:75], v30, v30                         // 00000000BE48: D048004A 00023D1E
	v_bfe_u32 v248, v30, 16, 1                                 // 00000000BE50: D1C800F8 0205211E
	v_add3_u32 v248, v30, v248, v251                           // 00000000BE58: D1FF00F8 07EFF11E
	v_cndmask_b32_e64 v28, v248, v250, s[74:75]                // 00000000BE60: D100001C 012BF5F8
	v_lshrrev_b32_e32 v28, 16, v28                             // 00000000BE68: 20383890
	v_cmp_u_f32_e64 s[74:75], v31, v31                         // 00000000BE6C: D048004A 00023F1F
	v_bfe_u32 v248, v31, 16, 1                                 // 00000000BE74: D1C800F8 0205211F
	v_add3_u32 v248, v31, v248, v251                           // 00000000BE7C: D1FF00F8 07EFF11F
	v_cndmask_b32_e64 v29, v248, v250, s[74:75]                // 00000000BE84: D100001D 012BF5F8
	v_and_or_b32 v163, v29, v249, v28                          // 00000000BE8C: D20100A3 0473F31D
	v_mov_b32_e32 v30, v176                                    // 00000000BE94: 7E3C03B0
	v_mov_b32_e32 v31, v177                                    // 00000000BE98: 7E3E03B1
	v_cmp_u_f32_e64 s[74:75], v30, v30                         // 00000000BE9C: D048004A 00023D1E
	v_bfe_u32 v248, v30, 16, 1                                 // 00000000BEA4: D1C800F8 0205211E
	v_add3_u32 v248, v30, v248, v251                           // 00000000BEAC: D1FF00F8 07EFF11E
	v_cndmask_b32_e64 v28, v248, v250, s[74:75]                // 00000000BEB4: D100001C 012BF5F8
	v_lshrrev_b32_e32 v28, 16, v28                             // 00000000BEBC: 20383890
	v_cmp_u_f32_e64 s[74:75], v31, v31                         // 00000000BEC0: D048004A 00023F1F
	v_bfe_u32 v248, v31, 16, 1                                 // 00000000BEC8: D1C800F8 0205211F
	v_add3_u32 v248, v31, v248, v251                           // 00000000BED0: D1FF00F8 07EFF11F
	v_cndmask_b32_e64 v29, v248, v250, s[74:75]                // 00000000BED8: D100001D 012BF5F8
	v_and_or_b32 v164, v29, v249, v28                          // 00000000BEE0: D20100A4 0473F31D
	v_mov_b32_e32 v30, v178                                    // 00000000BEE8: 7E3C03B2
	v_mov_b32_e32 v31, v179                                    // 00000000BEEC: 7E3E03B3
	v_cmp_u_f32_e64 s[74:75], v30, v30                         // 00000000BEF0: D048004A 00023D1E
	v_bfe_u32 v248, v30, 16, 1                                 // 00000000BEF8: D1C800F8 0205211E
	v_add3_u32 v248, v30, v248, v251                           // 00000000BF00: D1FF00F8 07EFF11E
	v_cndmask_b32_e64 v28, v248, v250, s[74:75]                // 00000000BF08: D100001C 012BF5F8
	v_lshrrev_b32_e32 v28, 16, v28                             // 00000000BF10: 20383890
	v_cmp_u_f32_e64 s[74:75], v31, v31                         // 00000000BF14: D048004A 00023F1F
	v_bfe_u32 v248, v31, 16, 1                                 // 00000000BF1C: D1C800F8 0205211F
	v_add3_u32 v248, v31, v248, v251                           // 00000000BF24: D1FF00F8 07EFF11F
	v_cndmask_b32_e64 v29, v248, v250, s[74:75]                // 00000000BF2C: D100001D 012BF5F8
	v_and_or_b32 v165, v29, v249, v28                          // 00000000BF34: D20100A5 0473F31D
	v_mov_b32_e32 v30, v180                                    // 00000000BF3C: 7E3C03B4
	v_mov_b32_e32 v31, v181                                    // 00000000BF40: 7E3E03B5
	v_cmp_u_f32_e64 s[74:75], v30, v30                         // 00000000BF44: D048004A 00023D1E
	v_bfe_u32 v248, v30, 16, 1                                 // 00000000BF4C: D1C800F8 0205211E
	v_add3_u32 v248, v30, v248, v251                           // 00000000BF54: D1FF00F8 07EFF11E
	v_cndmask_b32_e64 v28, v248, v250, s[74:75]                // 00000000BF5C: D100001C 012BF5F8
	v_lshrrev_b32_e32 v28, 16, v28                             // 00000000BF64: 20383890
	v_cmp_u_f32_e64 s[74:75], v31, v31                         // 00000000BF68: D048004A 00023F1F
	v_bfe_u32 v248, v31, 16, 1                                 // 00000000BF70: D1C800F8 0205211F
	v_add3_u32 v248, v31, v248, v251                           // 00000000BF78: D1FF00F8 07EFF11F
	v_cndmask_b32_e64 v29, v248, v250, s[74:75]                // 00000000BF80: D100001D 012BF5F8
	v_and_or_b32 v166, v29, v249, v28                          // 00000000BF88: D20100A6 0473F31D
	v_mov_b32_e32 v30, v182                                    // 00000000BF90: 7E3C03B6
	v_mov_b32_e32 v31, v183                                    // 00000000BF94: 7E3E03B7
	v_cmp_u_f32_e64 s[74:75], v30, v30                         // 00000000BF98: D048004A 00023D1E
	v_bfe_u32 v248, v30, 16, 1                                 // 00000000BFA0: D1C800F8 0205211E
	v_add3_u32 v248, v30, v248, v251                           // 00000000BFA8: D1FF00F8 07EFF11E
	v_cndmask_b32_e64 v28, v248, v250, s[74:75]                // 00000000BFB0: D100001C 012BF5F8
	v_lshrrev_b32_e32 v28, 16, v28                             // 00000000BFB8: 20383890
	v_cmp_u_f32_e64 s[74:75], v31, v31                         // 00000000BFBC: D048004A 00023F1F
	v_bfe_u32 v248, v31, 16, 1                                 // 00000000BFC4: D1C800F8 0205211F
	v_add3_u32 v248, v31, v248, v251                           // 00000000BFCC: D1FF00F8 07EFF11F
	v_cndmask_b32_e64 v29, v248, v250, s[74:75]                // 00000000BFD4: D100001D 012BF5F8
	v_and_or_b32 v167, v29, v249, v28                          // 00000000BFDC: D20100A7 0473F31D
	ds_write_b64 v25, v[152:153]                               // 00000000BFE4: D89A0000 00009819
	ds_write_b64 v25, v[154:155] offset:528                    // 00000000BFEC: D89A0210 00009A19
	ds_write_b64 v25, v[156:157] offset:1056                   // 00000000BFF4: D89A0420 00009C19
	ds_write_b64 v25, v[158:159] offset:1584                   // 00000000BFFC: D89A0630 00009E19
	ds_write_b64 v25, v[160:161] offset:2112                   // 00000000C004: D89A0840 0000A019
	ds_write_b64 v25, v[162:163] offset:2640                   // 00000000C00C: D89A0A50 0000A219
	ds_write_b64 v25, v[164:165] offset:3168                   // 00000000C014: D89A0C60 0000A419
	ds_write_b64 v25, v[166:167] offset:3696                   // 00000000C01C: D89A0E70 0000A619
	s_waitcnt lgkmcnt(0)                                       // 00000000C024: BF8CC07F
	s_barrier                                                  // 00000000C028: BF8A0000
	ds_read_b64 v[152:153], v24                                // 00000000C02C: D8EC0000 98000018
	ds_read_b64 v[154:155], v24 offset:128                     // 00000000C034: D8EC0080 9A000018
	ds_read_b64 v[156:157], v24 offset:32                      // 00000000C03C: D8EC0020 9C000018
	ds_read_b64 v[158:159], v24 offset:160                     // 00000000C044: D8EC00A0 9E000018
	ds_read_b64 v[160:161], v24 offset:64                      // 00000000C04C: D8EC0040 A0000018
	ds_read_b64 v[162:163], v24 offset:192                     // 00000000C054: D8EC00C0 A2000018
	ds_read_b64 v[164:165], v24 offset:96                      // 00000000C05C: D8EC0060 A4000018
	ds_read_b64 v[166:167], v24 offset:224                     // 00000000C064: D8EC00E0 A6000018
	s_waitcnt lgkmcnt(0)                                       // 00000000C06C: BF8CC07F
	s_mov_b32 s70, s53                                         // 00000000C070: BEC60035
	s_mov_b64 exec, s[90:91]                                   // 00000000C074: BEFE015A
	buffer_store_dwordx4 v[152:155], v6, s[40:43], 0 idxen     // 00000000C078: E07C2000 800A9806
	s_mov_b64 exec, s[86:87]                                   // 00000000C080: BEFE0156
	v_add_u32_e32 v6, s70, v6                                  // 00000000C084: 680C0C46
	s_mov_b64 exec, s[90:91]                                   // 00000000C088: BEFE015A
	buffer_store_dwordx4 v[156:159], v6, s[40:43], 0 idxen     // 00000000C08C: E07C2000 800A9C06
	s_mov_b64 exec, s[86:87]                                   // 00000000C094: BEFE0156
	v_add_u32_e32 v6, s70, v6                                  // 00000000C098: 680C0C46
	s_mov_b64 exec, s[90:91]                                   // 00000000C09C: BEFE015A
	buffer_store_dwordx4 v[160:163], v6, s[40:43], 0 idxen     // 00000000C0A0: E07C2000 800AA006
	s_mov_b64 exec, s[86:87]                                   // 00000000C0A8: BEFE0156
	v_add_u32_e32 v6, s70, v6                                  // 00000000C0AC: 680C0C46
	s_mov_b64 exec, s[90:91]                                   // 00000000C0B0: BEFE015A
	buffer_store_dwordx4 v[164:167], v6, s[40:43], 0 idxen     // 00000000C0B4: E07C2000 800AA406
	s_mov_b64 exec, s[86:87]                                   // 00000000C0BC: BEFE0156
	v_add_u32_e32 v6, s70, v6                                  // 00000000C0C0: 680C0C46
	s_mul_i32 s60, 12, s70                                     // 00000000C0C4: 923C468C
	v_add_u32_e32 v6, s60, v6                                  // 00000000C0C8: 680C0C3C
	s_cmp_ge_i32 1, s73                                        // 00000000C0CC: BF034981
	s_cbranch_scc1 label_23E5                                  // 00000000C0D0: BF850318
	v_mov_b32_e32 v30, v184                                    // 00000000C0D4: 7E3C03B8
	v_mov_b32_e32 v31, v185                                    // 00000000C0D8: 7E3E03B9
	v_cmp_u_f32_e64 s[74:75], v30, v30                         // 00000000C0DC: D048004A 00023D1E
	v_bfe_u32 v248, v30, 16, 1                                 // 00000000C0E4: D1C800F8 0205211E
	v_add3_u32 v248, v30, v248, v251                           // 00000000C0EC: D1FF00F8 07EFF11E
	v_cndmask_b32_e64 v28, v248, v250, s[74:75]                // 00000000C0F4: D100001C 012BF5F8
	v_lshrrev_b32_e32 v28, 16, v28                             // 00000000C0FC: 20383890
	v_cmp_u_f32_e64 s[74:75], v31, v31                         // 00000000C100: D048004A 00023F1F
	v_bfe_u32 v248, v31, 16, 1                                 // 00000000C108: D1C800F8 0205211F
	v_add3_u32 v248, v31, v248, v251                           // 00000000C110: D1FF00F8 07EFF11F
	v_cndmask_b32_e64 v29, v248, v250, s[74:75]                // 00000000C118: D100001D 012BF5F8
	v_and_or_b32 v168, v29, v249, v28                          // 00000000C120: D20100A8 0473F31D
	v_mov_b32_e32 v30, v186                                    // 00000000C128: 7E3C03BA
	v_mov_b32_e32 v31, v187                                    // 00000000C12C: 7E3E03BB
	v_cmp_u_f32_e64 s[74:75], v30, v30                         // 00000000C130: D048004A 00023D1E
	v_bfe_u32 v248, v30, 16, 1                                 // 00000000C138: D1C800F8 0205211E
	v_add3_u32 v248, v30, v248, v251                           // 00000000C140: D1FF00F8 07EFF11E
	v_cndmask_b32_e64 v28, v248, v250, s[74:75]                // 00000000C148: D100001C 012BF5F8
	v_lshrrev_b32_e32 v28, 16, v28                             // 00000000C150: 20383890
	v_cmp_u_f32_e64 s[74:75], v31, v31                         // 00000000C154: D048004A 00023F1F
	v_bfe_u32 v248, v31, 16, 1                                 // 00000000C15C: D1C800F8 0205211F
	v_add3_u32 v248, v31, v248, v251                           // 00000000C164: D1FF00F8 07EFF11F
	v_cndmask_b32_e64 v29, v248, v250, s[74:75]                // 00000000C16C: D100001D 012BF5F8
	v_and_or_b32 v169, v29, v249, v28                          // 00000000C174: D20100A9 0473F31D
	v_mov_b32_e32 v30, v188                                    // 00000000C17C: 7E3C03BC
	v_mov_b32_e32 v31, v189                                    // 00000000C180: 7E3E03BD
	v_cmp_u_f32_e64 s[74:75], v30, v30                         // 00000000C184: D048004A 00023D1E
	v_bfe_u32 v248, v30, 16, 1                                 // 00000000C18C: D1C800F8 0205211E
	v_add3_u32 v248, v30, v248, v251                           // 00000000C194: D1FF00F8 07EFF11E
	v_cndmask_b32_e64 v28, v248, v250, s[74:75]                // 00000000C19C: D100001C 012BF5F8
	v_lshrrev_b32_e32 v28, 16, v28                             // 00000000C1A4: 20383890
	v_cmp_u_f32_e64 s[74:75], v31, v31                         // 00000000C1A8: D048004A 00023F1F
	v_bfe_u32 v248, v31, 16, 1                                 // 00000000C1B0: D1C800F8 0205211F
	v_add3_u32 v248, v31, v248, v251                           // 00000000C1B8: D1FF00F8 07EFF11F
	v_cndmask_b32_e64 v29, v248, v250, s[74:75]                // 00000000C1C0: D100001D 012BF5F8
	v_and_or_b32 v170, v29, v249, v28                          // 00000000C1C8: D20100AA 0473F31D
	v_mov_b32_e32 v30, v190                                    // 00000000C1D0: 7E3C03BE
	v_mov_b32_e32 v31, v191                                    // 00000000C1D4: 7E3E03BF
	v_cmp_u_f32_e64 s[74:75], v30, v30                         // 00000000C1D8: D048004A 00023D1E
	v_bfe_u32 v248, v30, 16, 1                                 // 00000000C1E0: D1C800F8 0205211E
	v_add3_u32 v248, v30, v248, v251                           // 00000000C1E8: D1FF00F8 07EFF11E
	v_cndmask_b32_e64 v28, v248, v250, s[74:75]                // 00000000C1F0: D100001C 012BF5F8
	v_lshrrev_b32_e32 v28, 16, v28                             // 00000000C1F8: 20383890
	v_cmp_u_f32_e64 s[74:75], v31, v31                         // 00000000C1FC: D048004A 00023F1F
	v_bfe_u32 v248, v31, 16, 1                                 // 00000000C204: D1C800F8 0205211F
	v_add3_u32 v248, v31, v248, v251                           // 00000000C20C: D1FF00F8 07EFF11F
	v_cndmask_b32_e64 v29, v248, v250, s[74:75]                // 00000000C214: D100001D 012BF5F8
	v_and_or_b32 v171, v29, v249, v28                          // 00000000C21C: D20100AB 0473F31D
	v_mov_b32_e32 v30, v192                                    // 00000000C224: 7E3C03C0
	v_mov_b32_e32 v31, v193                                    // 00000000C228: 7E3E03C1
	v_cmp_u_f32_e64 s[74:75], v30, v30                         // 00000000C22C: D048004A 00023D1E
	v_bfe_u32 v248, v30, 16, 1                                 // 00000000C234: D1C800F8 0205211E
	v_add3_u32 v248, v30, v248, v251                           // 00000000C23C: D1FF00F8 07EFF11E
	v_cndmask_b32_e64 v28, v248, v250, s[74:75]                // 00000000C244: D100001C 012BF5F8
	v_lshrrev_b32_e32 v28, 16, v28                             // 00000000C24C: 20383890
	v_cmp_u_f32_e64 s[74:75], v31, v31                         // 00000000C250: D048004A 00023F1F
	v_bfe_u32 v248, v31, 16, 1                                 // 00000000C258: D1C800F8 0205211F
	v_add3_u32 v248, v31, v248, v251                           // 00000000C260: D1FF00F8 07EFF11F
	v_cndmask_b32_e64 v29, v248, v250, s[74:75]                // 00000000C268: D100001D 012BF5F8
	v_and_or_b32 v172, v29, v249, v28                          // 00000000C270: D20100AC 0473F31D
	v_mov_b32_e32 v30, v194                                    // 00000000C278: 7E3C03C2
	v_mov_b32_e32 v31, v195                                    // 00000000C27C: 7E3E03C3
	v_cmp_u_f32_e64 s[74:75], v30, v30                         // 00000000C280: D048004A 00023D1E
	v_bfe_u32 v248, v30, 16, 1                                 // 00000000C288: D1C800F8 0205211E
	v_add3_u32 v248, v30, v248, v251                           // 00000000C290: D1FF00F8 07EFF11E
	v_cndmask_b32_e64 v28, v248, v250, s[74:75]                // 00000000C298: D100001C 012BF5F8
	v_lshrrev_b32_e32 v28, 16, v28                             // 00000000C2A0: 20383890
	v_cmp_u_f32_e64 s[74:75], v31, v31                         // 00000000C2A4: D048004A 00023F1F
	v_bfe_u32 v248, v31, 16, 1                                 // 00000000C2AC: D1C800F8 0205211F
	v_add3_u32 v248, v31, v248, v251                           // 00000000C2B4: D1FF00F8 07EFF11F
	v_cndmask_b32_e64 v29, v248, v250, s[74:75]                // 00000000C2BC: D100001D 012BF5F8
	v_and_or_b32 v173, v29, v249, v28                          // 00000000C2C4: D20100AD 0473F31D
	v_mov_b32_e32 v30, v196                                    // 00000000C2CC: 7E3C03C4
	v_mov_b32_e32 v31, v197                                    // 00000000C2D0: 7E3E03C5
	v_cmp_u_f32_e64 s[74:75], v30, v30                         // 00000000C2D4: D048004A 00023D1E
	v_bfe_u32 v248, v30, 16, 1                                 // 00000000C2DC: D1C800F8 0205211E
	v_add3_u32 v248, v30, v248, v251                           // 00000000C2E4: D1FF00F8 07EFF11E
	v_cndmask_b32_e64 v28, v248, v250, s[74:75]                // 00000000C2EC: D100001C 012BF5F8
	v_lshrrev_b32_e32 v28, 16, v28                             // 00000000C2F4: 20383890
	v_cmp_u_f32_e64 s[74:75], v31, v31                         // 00000000C2F8: D048004A 00023F1F
	v_bfe_u32 v248, v31, 16, 1                                 // 00000000C300: D1C800F8 0205211F
	v_add3_u32 v248, v31, v248, v251                           // 00000000C308: D1FF00F8 07EFF11F
	v_cndmask_b32_e64 v29, v248, v250, s[74:75]                // 00000000C310: D100001D 012BF5F8
	v_and_or_b32 v174, v29, v249, v28                          // 00000000C318: D20100AE 0473F31D
	v_mov_b32_e32 v30, v198                                    // 00000000C320: 7E3C03C6
	v_mov_b32_e32 v31, v199                                    // 00000000C324: 7E3E03C7
	v_cmp_u_f32_e64 s[74:75], v30, v30                         // 00000000C328: D048004A 00023D1E
	v_bfe_u32 v248, v30, 16, 1                                 // 00000000C330: D1C800F8 0205211E
	v_add3_u32 v248, v30, v248, v251                           // 00000000C338: D1FF00F8 07EFF11E
	v_cndmask_b32_e64 v28, v248, v250, s[74:75]                // 00000000C340: D100001C 012BF5F8
	v_lshrrev_b32_e32 v28, 16, v28                             // 00000000C348: 20383890
	v_cmp_u_f32_e64 s[74:75], v31, v31                         // 00000000C34C: D048004A 00023F1F
	v_bfe_u32 v248, v31, 16, 1                                 // 00000000C354: D1C800F8 0205211F
	v_add3_u32 v248, v31, v248, v251                           // 00000000C35C: D1FF00F8 07EFF11F
	v_cndmask_b32_e64 v29, v248, v250, s[74:75]                // 00000000C364: D100001D 012BF5F8
	v_and_or_b32 v175, v29, v249, v28                          // 00000000C36C: D20100AF 0473F31D
	v_mov_b32_e32 v30, v200                                    // 00000000C374: 7E3C03C8
	v_mov_b32_e32 v31, v201                                    // 00000000C378: 7E3E03C9
	v_cmp_u_f32_e64 s[74:75], v30, v30                         // 00000000C37C: D048004A 00023D1E
	v_bfe_u32 v248, v30, 16, 1                                 // 00000000C384: D1C800F8 0205211E
	v_add3_u32 v248, v30, v248, v251                           // 00000000C38C: D1FF00F8 07EFF11E
	v_cndmask_b32_e64 v28, v248, v250, s[74:75]                // 00000000C394: D100001C 012BF5F8
	v_lshrrev_b32_e32 v28, 16, v28                             // 00000000C39C: 20383890
	v_cmp_u_f32_e64 s[74:75], v31, v31                         // 00000000C3A0: D048004A 00023F1F
	v_bfe_u32 v248, v31, 16, 1                                 // 00000000C3A8: D1C800F8 0205211F
	v_add3_u32 v248, v31, v248, v251                           // 00000000C3B0: D1FF00F8 07EFF11F
	v_cndmask_b32_e64 v29, v248, v250, s[74:75]                // 00000000C3B8: D100001D 012BF5F8
	v_and_or_b32 v176, v29, v249, v28                          // 00000000C3C0: D20100B0 0473F31D
	v_mov_b32_e32 v30, v202                                    // 00000000C3C8: 7E3C03CA
	v_mov_b32_e32 v31, v203                                    // 00000000C3CC: 7E3E03CB
	v_cmp_u_f32_e64 s[74:75], v30, v30                         // 00000000C3D0: D048004A 00023D1E
	v_bfe_u32 v248, v30, 16, 1                                 // 00000000C3D8: D1C800F8 0205211E
	v_add3_u32 v248, v30, v248, v251                           // 00000000C3E0: D1FF00F8 07EFF11E
	v_cndmask_b32_e64 v28, v248, v250, s[74:75]                // 00000000C3E8: D100001C 012BF5F8
	v_lshrrev_b32_e32 v28, 16, v28                             // 00000000C3F0: 20383890
	v_cmp_u_f32_e64 s[74:75], v31, v31                         // 00000000C3F4: D048004A 00023F1F
	v_bfe_u32 v248, v31, 16, 1                                 // 00000000C3FC: D1C800F8 0205211F
	v_add3_u32 v248, v31, v248, v251                           // 00000000C404: D1FF00F8 07EFF11F
	v_cndmask_b32_e64 v29, v248, v250, s[74:75]                // 00000000C40C: D100001D 012BF5F8
	v_and_or_b32 v177, v29, v249, v28                          // 00000000C414: D20100B1 0473F31D
	v_mov_b32_e32 v30, v204                                    // 00000000C41C: 7E3C03CC
	v_mov_b32_e32 v31, v205                                    // 00000000C420: 7E3E03CD
	v_cmp_u_f32_e64 s[74:75], v30, v30                         // 00000000C424: D048004A 00023D1E
	v_bfe_u32 v248, v30, 16, 1                                 // 00000000C42C: D1C800F8 0205211E
	v_add3_u32 v248, v30, v248, v251                           // 00000000C434: D1FF00F8 07EFF11E
	v_cndmask_b32_e64 v28, v248, v250, s[74:75]                // 00000000C43C: D100001C 012BF5F8
	v_lshrrev_b32_e32 v28, 16, v28                             // 00000000C444: 20383890
	v_cmp_u_f32_e64 s[74:75], v31, v31                         // 00000000C448: D048004A 00023F1F
	v_bfe_u32 v248, v31, 16, 1                                 // 00000000C450: D1C800F8 0205211F
	v_add3_u32 v248, v31, v248, v251                           // 00000000C458: D1FF00F8 07EFF11F
	v_cndmask_b32_e64 v29, v248, v250, s[74:75]                // 00000000C460: D100001D 012BF5F8
	v_and_or_b32 v178, v29, v249, v28                          // 00000000C468: D20100B2 0473F31D
	v_mov_b32_e32 v30, v206                                    // 00000000C470: 7E3C03CE
	v_mov_b32_e32 v31, v207                                    // 00000000C474: 7E3E03CF
	v_cmp_u_f32_e64 s[74:75], v30, v30                         // 00000000C478: D048004A 00023D1E
	v_bfe_u32 v248, v30, 16, 1                                 // 00000000C480: D1C800F8 0205211E
	v_add3_u32 v248, v30, v248, v251                           // 00000000C488: D1FF00F8 07EFF11E
	v_cndmask_b32_e64 v28, v248, v250, s[74:75]                // 00000000C490: D100001C 012BF5F8
	v_lshrrev_b32_e32 v28, 16, v28                             // 00000000C498: 20383890
	v_cmp_u_f32_e64 s[74:75], v31, v31                         // 00000000C49C: D048004A 00023F1F
	v_bfe_u32 v248, v31, 16, 1                                 // 00000000C4A4: D1C800F8 0205211F
	v_add3_u32 v248, v31, v248, v251                           // 00000000C4AC: D1FF00F8 07EFF11F
	v_cndmask_b32_e64 v29, v248, v250, s[74:75]                // 00000000C4B4: D100001D 012BF5F8
	v_and_or_b32 v179, v29, v249, v28                          // 00000000C4BC: D20100B3 0473F31D
	v_mov_b32_e32 v30, v208                                    // 00000000C4C4: 7E3C03D0
	v_mov_b32_e32 v31, v209                                    // 00000000C4C8: 7E3E03D1
	v_cmp_u_f32_e64 s[74:75], v30, v30                         // 00000000C4CC: D048004A 00023D1E
	v_bfe_u32 v248, v30, 16, 1                                 // 00000000C4D4: D1C800F8 0205211E
	v_add3_u32 v248, v30, v248, v251                           // 00000000C4DC: D1FF00F8 07EFF11E
	v_cndmask_b32_e64 v28, v248, v250, s[74:75]                // 00000000C4E4: D100001C 012BF5F8
	v_lshrrev_b32_e32 v28, 16, v28                             // 00000000C4EC: 20383890
	v_cmp_u_f32_e64 s[74:75], v31, v31                         // 00000000C4F0: D048004A 00023F1F
	v_bfe_u32 v248, v31, 16, 1                                 // 00000000C4F8: D1C800F8 0205211F
	v_add3_u32 v248, v31, v248, v251                           // 00000000C500: D1FF00F8 07EFF11F
	v_cndmask_b32_e64 v29, v248, v250, s[74:75]                // 00000000C508: D100001D 012BF5F8
	v_and_or_b32 v180, v29, v249, v28                          // 00000000C510: D20100B4 0473F31D
	v_mov_b32_e32 v30, v210                                    // 00000000C518: 7E3C03D2
	v_mov_b32_e32 v31, v211                                    // 00000000C51C: 7E3E03D3
	v_cmp_u_f32_e64 s[74:75], v30, v30                         // 00000000C520: D048004A 00023D1E
	v_bfe_u32 v248, v30, 16, 1                                 // 00000000C528: D1C800F8 0205211E
	v_add3_u32 v248, v30, v248, v251                           // 00000000C530: D1FF00F8 07EFF11E
	v_cndmask_b32_e64 v28, v248, v250, s[74:75]                // 00000000C538: D100001C 012BF5F8
	v_lshrrev_b32_e32 v28, 16, v28                             // 00000000C540: 20383890
	v_cmp_u_f32_e64 s[74:75], v31, v31                         // 00000000C544: D048004A 00023F1F
	v_bfe_u32 v248, v31, 16, 1                                 // 00000000C54C: D1C800F8 0205211F
	v_add3_u32 v248, v31, v248, v251                           // 00000000C554: D1FF00F8 07EFF11F
	v_cndmask_b32_e64 v29, v248, v250, s[74:75]                // 00000000C55C: D100001D 012BF5F8
	v_and_or_b32 v181, v29, v249, v28                          // 00000000C564: D20100B5 0473F31D
	v_mov_b32_e32 v30, v212                                    // 00000000C56C: 7E3C03D4
	v_mov_b32_e32 v31, v213                                    // 00000000C570: 7E3E03D5
	v_cmp_u_f32_e64 s[74:75], v30, v30                         // 00000000C574: D048004A 00023D1E
	v_bfe_u32 v248, v30, 16, 1                                 // 00000000C57C: D1C800F8 0205211E
	v_add3_u32 v248, v30, v248, v251                           // 00000000C584: D1FF00F8 07EFF11E
	v_cndmask_b32_e64 v28, v248, v250, s[74:75]                // 00000000C58C: D100001C 012BF5F8
	v_lshrrev_b32_e32 v28, 16, v28                             // 00000000C594: 20383890
	v_cmp_u_f32_e64 s[74:75], v31, v31                         // 00000000C598: D048004A 00023F1F
	v_bfe_u32 v248, v31, 16, 1                                 // 00000000C5A0: D1C800F8 0205211F
	v_add3_u32 v248, v31, v248, v251                           // 00000000C5A8: D1FF00F8 07EFF11F
	v_cndmask_b32_e64 v29, v248, v250, s[74:75]                // 00000000C5B0: D100001D 012BF5F8
	v_and_or_b32 v182, v29, v249, v28                          // 00000000C5B8: D20100B6 0473F31D
	v_mov_b32_e32 v30, v214                                    // 00000000C5C0: 7E3C03D6
	v_mov_b32_e32 v31, v215                                    // 00000000C5C4: 7E3E03D7
	v_cmp_u_f32_e64 s[74:75], v30, v30                         // 00000000C5C8: D048004A 00023D1E
	v_bfe_u32 v248, v30, 16, 1                                 // 00000000C5D0: D1C800F8 0205211E
	v_add3_u32 v248, v30, v248, v251                           // 00000000C5D8: D1FF00F8 07EFF11E
	v_cndmask_b32_e64 v28, v248, v250, s[74:75]                // 00000000C5E0: D100001C 012BF5F8
	v_lshrrev_b32_e32 v28, 16, v28                             // 00000000C5E8: 20383890
	v_cmp_u_f32_e64 s[74:75], v31, v31                         // 00000000C5EC: D048004A 00023F1F
	v_bfe_u32 v248, v31, 16, 1                                 // 00000000C5F4: D1C800F8 0205211F
	v_add3_u32 v248, v31, v248, v251                           // 00000000C5FC: D1FF00F8 07EFF11F
	v_cndmask_b32_e64 v29, v248, v250, s[74:75]                // 00000000C604: D100001D 012BF5F8
	v_and_or_b32 v183, v29, v249, v28                          // 00000000C60C: D20100B7 0473F31D
	ds_write_b64 v25, v[168:169] offset:16896                  // 00000000C614: D89A4200 0000A819
	ds_write_b64 v25, v[170:171] offset:17424                  // 00000000C61C: D89A4410 0000AA19
	ds_write_b64 v25, v[172:173] offset:17952                  // 00000000C624: D89A4620 0000AC19
	ds_write_b64 v25, v[174:175] offset:18480                  // 00000000C62C: D89A4830 0000AE19
	ds_write_b64 v25, v[176:177] offset:19008                  // 00000000C634: D89A4A40 0000B019
	ds_write_b64 v25, v[178:179] offset:19536                  // 00000000C63C: D89A4C50 0000B219
	ds_write_b64 v25, v[180:181] offset:20064                  // 00000000C644: D89A4E60 0000B419
	ds_write_b64 v25, v[182:183] offset:20592                  // 00000000C64C: D89A5070 0000B619
	s_waitcnt lgkmcnt(0)                                       // 00000000C654: BF8CC07F
	s_barrier                                                  // 00000000C658: BF8A0000
	ds_read_b64 v[168:169], v24 offset:16896                   // 00000000C65C: D8EC4200 A8000018
	ds_read_b64 v[170:171], v24 offset:17024                   // 00000000C664: D8EC4280 AA000018
	ds_read_b64 v[172:173], v24 offset:16928                   // 00000000C66C: D8EC4220 AC000018
	ds_read_b64 v[174:175], v24 offset:17056                   // 00000000C674: D8EC42A0 AE000018
	ds_read_b64 v[176:177], v24 offset:16960                   // 00000000C67C: D8EC4240 B0000018
	ds_read_b64 v[178:179], v24 offset:17088                   // 00000000C684: D8EC42C0 B2000018
	ds_read_b64 v[180:181], v24 offset:16992                   // 00000000C68C: D8EC4260 B4000018
	ds_read_b64 v[182:183], v24 offset:17120                   // 00000000C694: D8EC42E0 B6000018
	s_waitcnt lgkmcnt(0)                                       // 00000000C69C: BF8CC07F
	s_mov_b32 s70, s53                                         // 00000000C6A0: BEC60035
	s_mov_b64 exec, s[90:91]                                   // 00000000C6A4: BEFE015A
	buffer_store_dwordx4 v[168:171], v6, s[40:43], 0 idxen     // 00000000C6A8: E07C2000 800AA806
	s_mov_b64 exec, s[86:87]                                   // 00000000C6B0: BEFE0156
	v_add_u32_e32 v6, s70, v6                                  // 00000000C6B4: 680C0C46
	s_mov_b64 exec, s[90:91]                                   // 00000000C6B8: BEFE015A
	buffer_store_dwordx4 v[172:175], v6, s[40:43], 0 idxen     // 00000000C6BC: E07C2000 800AAC06
	s_mov_b64 exec, s[86:87]                                   // 00000000C6C4: BEFE0156
	v_add_u32_e32 v6, s70, v6                                  // 00000000C6C8: 680C0C46
	s_mov_b64 exec, s[90:91]                                   // 00000000C6CC: BEFE015A
	buffer_store_dwordx4 v[176:179], v6, s[40:43], 0 idxen     // 00000000C6D0: E07C2000 800AB006
	s_mov_b64 exec, s[86:87]                                   // 00000000C6D8: BEFE0156
	v_add_u32_e32 v6, s70, v6                                  // 00000000C6DC: 680C0C46
	s_mov_b64 exec, s[90:91]                                   // 00000000C6E0: BEFE015A
	buffer_store_dwordx4 v[180:183], v6, s[40:43], 0 idxen     // 00000000C6E4: E07C2000 800AB406
	s_mov_b64 exec, s[86:87]                                   // 00000000C6EC: BEFE0156
	v_add_u32_e32 v6, s70, v6                                  // 00000000C6F0: 680C0C46
	s_mul_i32 s60, 12, s70                                     // 00000000C6F4: 923C468C
	v_add_u32_e32 v6, s60, v6                                  // 00000000C6F8: 680C0C3C
	s_cmp_ge_i32 2, s73                                        // 00000000C6FC: BF034982
	s_cbranch_scc1 label_23E5                                  // 00000000C700: BF85018C
	v_mov_b32_e32 v30, v216                                    // 00000000C704: 7E3C03D8
	v_mov_b32_e32 v31, v217                                    // 00000000C708: 7E3E03D9
	v_cmp_u_f32_e64 s[74:75], v30, v30                         // 00000000C70C: D048004A 00023D1E
	v_bfe_u32 v248, v30, 16, 1                                 // 00000000C714: D1C800F8 0205211E
	v_add3_u32 v248, v30, v248, v251                           // 00000000C71C: D1FF00F8 07EFF11E
	v_cndmask_b32_e64 v28, v248, v250, s[74:75]                // 00000000C724: D100001C 012BF5F8
	v_lshrrev_b32_e32 v28, 16, v28                             // 00000000C72C: 20383890
	v_cmp_u_f32_e64 s[74:75], v31, v31                         // 00000000C730: D048004A 00023F1F
	v_bfe_u32 v248, v31, 16, 1                                 // 00000000C738: D1C800F8 0205211F
	v_add3_u32 v248, v31, v248, v251                           // 00000000C740: D1FF00F8 07EFF11F
	v_cndmask_b32_e64 v29, v248, v250, s[74:75]                // 00000000C748: D100001D 012BF5F8
	v_and_or_b32 v184, v29, v249, v28                          // 00000000C750: D20100B8 0473F31D
	v_mov_b32_e32 v30, v218                                    // 00000000C758: 7E3C03DA
	v_mov_b32_e32 v31, v219                                    // 00000000C75C: 7E3E03DB
	v_cmp_u_f32_e64 s[74:75], v30, v30                         // 00000000C760: D048004A 00023D1E
	v_bfe_u32 v248, v30, 16, 1                                 // 00000000C768: D1C800F8 0205211E
	v_add3_u32 v248, v30, v248, v251                           // 00000000C770: D1FF00F8 07EFF11E
	v_cndmask_b32_e64 v28, v248, v250, s[74:75]                // 00000000C778: D100001C 012BF5F8
	v_lshrrev_b32_e32 v28, 16, v28                             // 00000000C780: 20383890
	v_cmp_u_f32_e64 s[74:75], v31, v31                         // 00000000C784: D048004A 00023F1F
	v_bfe_u32 v248, v31, 16, 1                                 // 00000000C78C: D1C800F8 0205211F
	v_add3_u32 v248, v31, v248, v251                           // 00000000C794: D1FF00F8 07EFF11F
	v_cndmask_b32_e64 v29, v248, v250, s[74:75]                // 00000000C79C: D100001D 012BF5F8
	v_and_or_b32 v185, v29, v249, v28                          // 00000000C7A4: D20100B9 0473F31D
	v_mov_b32_e32 v30, v220                                    // 00000000C7AC: 7E3C03DC
	v_mov_b32_e32 v31, v221                                    // 00000000C7B0: 7E3E03DD
	v_cmp_u_f32_e64 s[74:75], v30, v30                         // 00000000C7B4: D048004A 00023D1E
	v_bfe_u32 v248, v30, 16, 1                                 // 00000000C7BC: D1C800F8 0205211E
	v_add3_u32 v248, v30, v248, v251                           // 00000000C7C4: D1FF00F8 07EFF11E
	v_cndmask_b32_e64 v28, v248, v250, s[74:75]                // 00000000C7CC: D100001C 012BF5F8
	v_lshrrev_b32_e32 v28, 16, v28                             // 00000000C7D4: 20383890
	v_cmp_u_f32_e64 s[74:75], v31, v31                         // 00000000C7D8: D048004A 00023F1F
	v_bfe_u32 v248, v31, 16, 1                                 // 00000000C7E0: D1C800F8 0205211F
	v_add3_u32 v248, v31, v248, v251                           // 00000000C7E8: D1FF00F8 07EFF11F
	v_cndmask_b32_e64 v29, v248, v250, s[74:75]                // 00000000C7F0: D100001D 012BF5F8
	v_and_or_b32 v186, v29, v249, v28                          // 00000000C7F8: D20100BA 0473F31D
	v_mov_b32_e32 v30, v222                                    // 00000000C800: 7E3C03DE
	v_mov_b32_e32 v31, v223                                    // 00000000C804: 7E3E03DF
	v_cmp_u_f32_e64 s[74:75], v30, v30                         // 00000000C808: D048004A 00023D1E
	v_bfe_u32 v248, v30, 16, 1                                 // 00000000C810: D1C800F8 0205211E
	v_add3_u32 v248, v30, v248, v251                           // 00000000C818: D1FF00F8 07EFF11E
	v_cndmask_b32_e64 v28, v248, v250, s[74:75]                // 00000000C820: D100001C 012BF5F8
	v_lshrrev_b32_e32 v28, 16, v28                             // 00000000C828: 20383890
	v_cmp_u_f32_e64 s[74:75], v31, v31                         // 00000000C82C: D048004A 00023F1F
	v_bfe_u32 v248, v31, 16, 1                                 // 00000000C834: D1C800F8 0205211F
	v_add3_u32 v248, v31, v248, v251                           // 00000000C83C: D1FF00F8 07EFF11F
	v_cndmask_b32_e64 v29, v248, v250, s[74:75]                // 00000000C844: D100001D 012BF5F8
	v_and_or_b32 v187, v29, v249, v28                          // 00000000C84C: D20100BB 0473F31D
	v_mov_b32_e32 v30, v224                                    // 00000000C854: 7E3C03E0
	v_mov_b32_e32 v31, v225                                    // 00000000C858: 7E3E03E1
	v_cmp_u_f32_e64 s[74:75], v30, v30                         // 00000000C85C: D048004A 00023D1E
	v_bfe_u32 v248, v30, 16, 1                                 // 00000000C864: D1C800F8 0205211E
	v_add3_u32 v248, v30, v248, v251                           // 00000000C86C: D1FF00F8 07EFF11E
	v_cndmask_b32_e64 v28, v248, v250, s[74:75]                // 00000000C874: D100001C 012BF5F8
	v_lshrrev_b32_e32 v28, 16, v28                             // 00000000C87C: 20383890
	v_cmp_u_f32_e64 s[74:75], v31, v31                         // 00000000C880: D048004A 00023F1F
	v_bfe_u32 v248, v31, 16, 1                                 // 00000000C888: D1C800F8 0205211F
	v_add3_u32 v248, v31, v248, v251                           // 00000000C890: D1FF00F8 07EFF11F
	v_cndmask_b32_e64 v29, v248, v250, s[74:75]                // 00000000C898: D100001D 012BF5F8
	v_and_or_b32 v188, v29, v249, v28                          // 00000000C8A0: D20100BC 0473F31D
	v_mov_b32_e32 v30, v226                                    // 00000000C8A8: 7E3C03E2
	v_mov_b32_e32 v31, v227                                    // 00000000C8AC: 7E3E03E3
	v_cmp_u_f32_e64 s[74:75], v30, v30                         // 00000000C8B0: D048004A 00023D1E
	v_bfe_u32 v248, v30, 16, 1                                 // 00000000C8B8: D1C800F8 0205211E
	v_add3_u32 v248, v30, v248, v251                           // 00000000C8C0: D1FF00F8 07EFF11E
	v_cndmask_b32_e64 v28, v248, v250, s[74:75]                // 00000000C8C8: D100001C 012BF5F8
	v_lshrrev_b32_e32 v28, 16, v28                             // 00000000C8D0: 20383890
	v_cmp_u_f32_e64 s[74:75], v31, v31                         // 00000000C8D4: D048004A 00023F1F
	v_bfe_u32 v248, v31, 16, 1                                 // 00000000C8DC: D1C800F8 0205211F
	v_add3_u32 v248, v31, v248, v251                           // 00000000C8E4: D1FF00F8 07EFF11F
	v_cndmask_b32_e64 v29, v248, v250, s[74:75]                // 00000000C8EC: D100001D 012BF5F8
	v_and_or_b32 v189, v29, v249, v28                          // 00000000C8F4: D20100BD 0473F31D
	v_mov_b32_e32 v30, v228                                    // 00000000C8FC: 7E3C03E4
	v_mov_b32_e32 v31, v229                                    // 00000000C900: 7E3E03E5
	v_cmp_u_f32_e64 s[74:75], v30, v30                         // 00000000C904: D048004A 00023D1E
	v_bfe_u32 v248, v30, 16, 1                                 // 00000000C90C: D1C800F8 0205211E
	v_add3_u32 v248, v30, v248, v251                           // 00000000C914: D1FF00F8 07EFF11E
	v_cndmask_b32_e64 v28, v248, v250, s[74:75]                // 00000000C91C: D100001C 012BF5F8
	v_lshrrev_b32_e32 v28, 16, v28                             // 00000000C924: 20383890
	v_cmp_u_f32_e64 s[74:75], v31, v31                         // 00000000C928: D048004A 00023F1F
	v_bfe_u32 v248, v31, 16, 1                                 // 00000000C930: D1C800F8 0205211F
	v_add3_u32 v248, v31, v248, v251                           // 00000000C938: D1FF00F8 07EFF11F
	v_cndmask_b32_e64 v29, v248, v250, s[74:75]                // 00000000C940: D100001D 012BF5F8
	v_and_or_b32 v190, v29, v249, v28                          // 00000000C948: D20100BE 0473F31D
	v_mov_b32_e32 v30, v230                                    // 00000000C950: 7E3C03E6
	v_mov_b32_e32 v31, v231                                    // 00000000C954: 7E3E03E7
	v_cmp_u_f32_e64 s[74:75], v30, v30                         // 00000000C958: D048004A 00023D1E
	v_bfe_u32 v248, v30, 16, 1                                 // 00000000C960: D1C800F8 0205211E
	v_add3_u32 v248, v30, v248, v251                           // 00000000C968: D1FF00F8 07EFF11E
	v_cndmask_b32_e64 v28, v248, v250, s[74:75]                // 00000000C970: D100001C 012BF5F8
	v_lshrrev_b32_e32 v28, 16, v28                             // 00000000C978: 20383890
	v_cmp_u_f32_e64 s[74:75], v31, v31                         // 00000000C97C: D048004A 00023F1F
	v_bfe_u32 v248, v31, 16, 1                                 // 00000000C984: D1C800F8 0205211F
	v_add3_u32 v248, v31, v248, v251                           // 00000000C98C: D1FF00F8 07EFF11F
	v_cndmask_b32_e64 v29, v248, v250, s[74:75]                // 00000000C994: D100001D 012BF5F8
	v_and_or_b32 v191, v29, v249, v28                          // 00000000C99C: D20100BF 0473F31D
	v_mov_b32_e32 v30, v232                                    // 00000000C9A4: 7E3C03E8
	v_mov_b32_e32 v31, v233                                    // 00000000C9A8: 7E3E03E9
	v_cmp_u_f32_e64 s[74:75], v30, v30                         // 00000000C9AC: D048004A 00023D1E
	v_bfe_u32 v248, v30, 16, 1                                 // 00000000C9B4: D1C800F8 0205211E
	v_add3_u32 v248, v30, v248, v251                           // 00000000C9BC: D1FF00F8 07EFF11E
	v_cndmask_b32_e64 v28, v248, v250, s[74:75]                // 00000000C9C4: D100001C 012BF5F8
	v_lshrrev_b32_e32 v28, 16, v28                             // 00000000C9CC: 20383890
	v_cmp_u_f32_e64 s[74:75], v31, v31                         // 00000000C9D0: D048004A 00023F1F
	v_bfe_u32 v248, v31, 16, 1                                 // 00000000C9D8: D1C800F8 0205211F
	v_add3_u32 v248, v31, v248, v251                           // 00000000C9E0: D1FF00F8 07EFF11F
	v_cndmask_b32_e64 v29, v248, v250, s[74:75]                // 00000000C9E8: D100001D 012BF5F8
	v_and_or_b32 v192, v29, v249, v28                          // 00000000C9F0: D20100C0 0473F31D
	v_mov_b32_e32 v30, v234                                    // 00000000C9F8: 7E3C03EA
	v_mov_b32_e32 v31, v235                                    // 00000000C9FC: 7E3E03EB
	v_cmp_u_f32_e64 s[74:75], v30, v30                         // 00000000CA00: D048004A 00023D1E
	v_bfe_u32 v248, v30, 16, 1                                 // 00000000CA08: D1C800F8 0205211E
	v_add3_u32 v248, v30, v248, v251                           // 00000000CA10: D1FF00F8 07EFF11E
	v_cndmask_b32_e64 v28, v248, v250, s[74:75]                // 00000000CA18: D100001C 012BF5F8
	v_lshrrev_b32_e32 v28, 16, v28                             // 00000000CA20: 20383890
	v_cmp_u_f32_e64 s[74:75], v31, v31                         // 00000000CA24: D048004A 00023F1F
	v_bfe_u32 v248, v31, 16, 1                                 // 00000000CA2C: D1C800F8 0205211F
	v_add3_u32 v248, v31, v248, v251                           // 00000000CA34: D1FF00F8 07EFF11F
	v_cndmask_b32_e64 v29, v248, v250, s[74:75]                // 00000000CA3C: D100001D 012BF5F8
	v_and_or_b32 v193, v29, v249, v28                          // 00000000CA44: D20100C1 0473F31D
	v_mov_b32_e32 v30, v236                                    // 00000000CA4C: 7E3C03EC
	v_mov_b32_e32 v31, v237                                    // 00000000CA50: 7E3E03ED
	v_cmp_u_f32_e64 s[74:75], v30, v30                         // 00000000CA54: D048004A 00023D1E
	v_bfe_u32 v248, v30, 16, 1                                 // 00000000CA5C: D1C800F8 0205211E
	v_add3_u32 v248, v30, v248, v251                           // 00000000CA64: D1FF00F8 07EFF11E
	v_cndmask_b32_e64 v28, v248, v250, s[74:75]                // 00000000CA6C: D100001C 012BF5F8
	v_lshrrev_b32_e32 v28, 16, v28                             // 00000000CA74: 20383890
	v_cmp_u_f32_e64 s[74:75], v31, v31                         // 00000000CA78: D048004A 00023F1F
	v_bfe_u32 v248, v31, 16, 1                                 // 00000000CA80: D1C800F8 0205211F
	v_add3_u32 v248, v31, v248, v251                           // 00000000CA88: D1FF00F8 07EFF11F
	v_cndmask_b32_e64 v29, v248, v250, s[74:75]                // 00000000CA90: D100001D 012BF5F8
	v_and_or_b32 v194, v29, v249, v28                          // 00000000CA98: D20100C2 0473F31D
	v_mov_b32_e32 v30, v238                                    // 00000000CAA0: 7E3C03EE
	v_mov_b32_e32 v31, v239                                    // 00000000CAA4: 7E3E03EF
	v_cmp_u_f32_e64 s[74:75], v30, v30                         // 00000000CAA8: D048004A 00023D1E
	v_bfe_u32 v248, v30, 16, 1                                 // 00000000CAB0: D1C800F8 0205211E
	v_add3_u32 v248, v30, v248, v251                           // 00000000CAB8: D1FF00F8 07EFF11E
	v_cndmask_b32_e64 v28, v248, v250, s[74:75]                // 00000000CAC0: D100001C 012BF5F8
	v_lshrrev_b32_e32 v28, 16, v28                             // 00000000CAC8: 20383890
	v_cmp_u_f32_e64 s[74:75], v31, v31                         // 00000000CACC: D048004A 00023F1F
	v_bfe_u32 v248, v31, 16, 1                                 // 00000000CAD4: D1C800F8 0205211F
	v_add3_u32 v248, v31, v248, v251                           // 00000000CADC: D1FF00F8 07EFF11F
	v_cndmask_b32_e64 v29, v248, v250, s[74:75]                // 00000000CAE4: D100001D 012BF5F8
	v_and_or_b32 v195, v29, v249, v28                          // 00000000CAEC: D20100C3 0473F31D
	v_mov_b32_e32 v30, v240                                    // 00000000CAF4: 7E3C03F0
	v_mov_b32_e32 v31, v241                                    // 00000000CAF8: 7E3E03F1
	v_cmp_u_f32_e64 s[74:75], v30, v30                         // 00000000CAFC: D048004A 00023D1E
	v_bfe_u32 v248, v30, 16, 1                                 // 00000000CB04: D1C800F8 0205211E
	v_add3_u32 v248, v30, v248, v251                           // 00000000CB0C: D1FF00F8 07EFF11E
	v_cndmask_b32_e64 v28, v248, v250, s[74:75]                // 00000000CB14: D100001C 012BF5F8
	v_lshrrev_b32_e32 v28, 16, v28                             // 00000000CB1C: 20383890
	v_cmp_u_f32_e64 s[74:75], v31, v31                         // 00000000CB20: D048004A 00023F1F
	v_bfe_u32 v248, v31, 16, 1                                 // 00000000CB28: D1C800F8 0205211F
	v_add3_u32 v248, v31, v248, v251                           // 00000000CB30: D1FF00F8 07EFF11F
	v_cndmask_b32_e64 v29, v248, v250, s[74:75]                // 00000000CB38: D100001D 012BF5F8
	v_and_or_b32 v196, v29, v249, v28                          // 00000000CB40: D20100C4 0473F31D
	v_mov_b32_e32 v30, v242                                    // 00000000CB48: 7E3C03F2
	v_mov_b32_e32 v31, v243                                    // 00000000CB4C: 7E3E03F3
	v_cmp_u_f32_e64 s[74:75], v30, v30                         // 00000000CB50: D048004A 00023D1E
	v_bfe_u32 v248, v30, 16, 1                                 // 00000000CB58: D1C800F8 0205211E
	v_add3_u32 v248, v30, v248, v251                           // 00000000CB60: D1FF00F8 07EFF11E
	v_cndmask_b32_e64 v28, v248, v250, s[74:75]                // 00000000CB68: D100001C 012BF5F8
	v_lshrrev_b32_e32 v28, 16, v28                             // 00000000CB70: 20383890
	v_cmp_u_f32_e64 s[74:75], v31, v31                         // 00000000CB74: D048004A 00023F1F
	v_bfe_u32 v248, v31, 16, 1                                 // 00000000CB7C: D1C800F8 0205211F
	v_add3_u32 v248, v31, v248, v251                           // 00000000CB84: D1FF00F8 07EFF11F
	v_cndmask_b32_e64 v29, v248, v250, s[74:75]                // 00000000CB8C: D100001D 012BF5F8
	v_and_or_b32 v197, v29, v249, v28                          // 00000000CB94: D20100C5 0473F31D
	v_mov_b32_e32 v30, v244                                    // 00000000CB9C: 7E3C03F4
	v_mov_b32_e32 v31, v245                                    // 00000000CBA0: 7E3E03F5
	v_cmp_u_f32_e64 s[74:75], v30, v30                         // 00000000CBA4: D048004A 00023D1E
	v_bfe_u32 v248, v30, 16, 1                                 // 00000000CBAC: D1C800F8 0205211E
	v_add3_u32 v248, v30, v248, v251                           // 00000000CBB4: D1FF00F8 07EFF11E
	v_cndmask_b32_e64 v28, v248, v250, s[74:75]                // 00000000CBBC: D100001C 012BF5F8
	v_lshrrev_b32_e32 v28, 16, v28                             // 00000000CBC4: 20383890
	v_cmp_u_f32_e64 s[74:75], v31, v31                         // 00000000CBC8: D048004A 00023F1F
	v_bfe_u32 v248, v31, 16, 1                                 // 00000000CBD0: D1C800F8 0205211F
	v_add3_u32 v248, v31, v248, v251                           // 00000000CBD8: D1FF00F8 07EFF11F
	v_cndmask_b32_e64 v29, v248, v250, s[74:75]                // 00000000CBE0: D100001D 012BF5F8
	v_and_or_b32 v198, v29, v249, v28                          // 00000000CBE8: D20100C6 0473F31D
	v_mov_b32_e32 v30, v246                                    // 00000000CBF0: 7E3C03F6
	v_mov_b32_e32 v31, v247                                    // 00000000CBF4: 7E3E03F7
	v_cmp_u_f32_e64 s[74:75], v30, v30                         // 00000000CBF8: D048004A 00023D1E
	v_bfe_u32 v248, v30, 16, 1                                 // 00000000CC00: D1C800F8 0205211E
	v_add3_u32 v248, v30, v248, v251                           // 00000000CC08: D1FF00F8 07EFF11E
	v_cndmask_b32_e64 v28, v248, v250, s[74:75]                // 00000000CC10: D100001C 012BF5F8
	v_lshrrev_b32_e32 v28, 16, v28                             // 00000000CC18: 20383890
	v_cmp_u_f32_e64 s[74:75], v31, v31                         // 00000000CC1C: D048004A 00023F1F
	v_bfe_u32 v248, v31, 16, 1                                 // 00000000CC24: D1C800F8 0205211F
	v_add3_u32 v248, v31, v248, v251                           // 00000000CC2C: D1FF00F8 07EFF11F
	v_cndmask_b32_e64 v29, v248, v250, s[74:75]                // 00000000CC34: D100001D 012BF5F8
	v_and_or_b32 v199, v29, v249, v28                          // 00000000CC3C: D20100C7 0473F31D
	ds_write_b64 v25, v[184:185] offset:33792                  // 00000000CC44: D89A8400 0000B819
	ds_write_b64 v25, v[186:187] offset:34320                  // 00000000CC4C: D89A8610 0000BA19
	ds_write_b64 v25, v[188:189] offset:34848                  // 00000000CC54: D89A8820 0000BC19
	ds_write_b64 v25, v[190:191] offset:35376                  // 00000000CC5C: D89A8A30 0000BE19
	ds_write_b64 v25, v[192:193] offset:35904                  // 00000000CC64: D89A8C40 0000C019
	ds_write_b64 v25, v[194:195] offset:36432                  // 00000000CC6C: D89A8E50 0000C219
	ds_write_b64 v25, v[196:197] offset:36960                  // 00000000CC74: D89A9060 0000C419
	ds_write_b64 v25, v[198:199] offset:37488                  // 00000000CC7C: D89A9270 0000C619
	s_waitcnt lgkmcnt(0)                                       // 00000000CC84: BF8CC07F
	s_barrier                                                  // 00000000CC88: BF8A0000
	ds_read_b64 v[184:185], v24 offset:33792                   // 00000000CC8C: D8EC8400 B8000018
	ds_read_b64 v[186:187], v24 offset:33920                   // 00000000CC94: D8EC8480 BA000018
	ds_read_b64 v[188:189], v24 offset:33824                   // 00000000CC9C: D8EC8420 BC000018
	ds_read_b64 v[190:191], v24 offset:33952                   // 00000000CCA4: D8EC84A0 BE000018
	ds_read_b64 v[192:193], v24 offset:33856                   // 00000000CCAC: D8EC8440 C0000018
	ds_read_b64 v[194:195], v24 offset:33984                   // 00000000CCB4: D8EC84C0 C2000018
	ds_read_b64 v[196:197], v24 offset:33888                   // 00000000CCBC: D8EC8460 C4000018
	ds_read_b64 v[198:199], v24 offset:34016                   // 00000000CCC4: D8EC84E0 C6000018
	s_waitcnt lgkmcnt(0)                                       // 00000000CCCC: BF8CC07F
	s_mov_b32 s70, s53                                         // 00000000CCD0: BEC60035
	s_mov_b64 exec, s[90:91]                                   // 00000000CCD4: BEFE015A
	buffer_store_dwordx4 v[184:187], v6, s[40:43], 0 idxen     // 00000000CCD8: E07C2000 800AB806
	s_mov_b64 exec, s[86:87]                                   // 00000000CCE0: BEFE0156
	v_add_u32_e32 v6, s70, v6                                  // 00000000CCE4: 680C0C46
	s_mov_b64 exec, s[90:91]                                   // 00000000CCE8: BEFE015A
	buffer_store_dwordx4 v[188:191], v6, s[40:43], 0 idxen     // 00000000CCEC: E07C2000 800ABC06
	s_mov_b64 exec, s[86:87]                                   // 00000000CCF4: BEFE0156
	v_add_u32_e32 v6, s70, v6                                  // 00000000CCF8: 680C0C46
	s_mov_b64 exec, s[90:91]                                   // 00000000CCFC: BEFE015A
	buffer_store_dwordx4 v[192:195], v6, s[40:43], 0 idxen     // 00000000CD00: E07C2000 800AC006
	s_mov_b64 exec, s[86:87]                                   // 00000000CD08: BEFE0156
	v_add_u32_e32 v6, s70, v6                                  // 00000000CD0C: 680C0C46
	s_mov_b64 exec, s[90:91]                                   // 00000000CD10: BEFE015A
	buffer_store_dwordx4 v[196:199], v6, s[40:43], 0 idxen     // 00000000CD14: E07C2000 800AC406
	s_mov_b64 exec, s[86:87]                                   // 00000000CD1C: BEFE0156
	v_add_u32_e32 v6, s70, v6                                  // 00000000CD20: 680C0C46
	s_mul_i32 s60, 12, s70                                     // 00000000CD24: 923C468C
	v_add_u32_e32 v6, s60, v6                                  // 00000000CD28: 680C0C3C
	s_cmp_ge_i32 3, s73                                        // 00000000CD2C: BF034983
	s_cbranch_scc1 label_23E5                                  // 00000000CD30: BF850000

000000000000cd34 <label_23E5>:
	s_waitcnt vmcnt(0) expcnt(0) lgkmcnt(0)                    // 00000000CD34: BF8C0000
	s_endpgm                                                   // 00000000CD38: BF810000
